;; amdgpu-corpus repo=ROCm/rocFFT kind=compiled arch=gfx1201 opt=O3
	.text
	.amdgcn_target "amdgcn-amd-amdhsa--gfx1201"
	.amdhsa_code_object_version 6
	.protected	fft_rtc_fwd_len1287_factors_3_13_3_11_wgs_117_tpt_117_sp_op_CI_CI_sbrr_dirReg ; -- Begin function fft_rtc_fwd_len1287_factors_3_13_3_11_wgs_117_tpt_117_sp_op_CI_CI_sbrr_dirReg
	.globl	fft_rtc_fwd_len1287_factors_3_13_3_11_wgs_117_tpt_117_sp_op_CI_CI_sbrr_dirReg
	.p2align	8
	.type	fft_rtc_fwd_len1287_factors_3_13_3_11_wgs_117_tpt_117_sp_op_CI_CI_sbrr_dirReg,@function
fft_rtc_fwd_len1287_factors_3_13_3_11_wgs_117_tpt_117_sp_op_CI_CI_sbrr_dirReg: ; @fft_rtc_fwd_len1287_factors_3_13_3_11_wgs_117_tpt_117_sp_op_CI_CI_sbrr_dirReg
; %bb.0:
	s_clause 0x2
	s_load_b128 s[12:15], s[0:1], 0x18
	s_load_b128 s[8:11], s[0:1], 0x0
	;; [unrolled: 1-line block ×3, first 2 shown]
	v_mul_u32_u24_e32 v1, 0x231, v0
	v_mov_b32_e32 v3, 0
	s_wait_kmcnt 0x0
	s_load_b64 s[18:19], s[12:13], 0x0
	s_load_b64 s[16:17], s[14:15], 0x0
	v_lshrrev_b32_e32 v1, 16, v1
	v_cmp_lt_u64_e64 s2, s[10:11], 2
	s_delay_alu instid0(VALU_DEP_2)
	v_add_nc_u32_e32 v5, ttmp9, v1
	v_mov_b32_e32 v1, 0
	v_mov_b32_e32 v2, 0
	;; [unrolled: 1-line block ×3, first 2 shown]
	s_and_b32 vcc_lo, exec_lo, s2
	s_cbranch_vccnz .LBB0_8
; %bb.1:
	s_load_b64 s[2:3], s[0:1], 0x10
	v_mov_b32_e32 v1, 0
	v_mov_b32_e32 v2, 0
	s_add_nc_u64 s[20:21], s[14:15], 8
	s_add_nc_u64 s[22:23], s[12:13], 8
	s_mov_b64 s[24:25], 1
	s_delay_alu instid0(VALU_DEP_1)
	v_dual_mov_b32 v25, v2 :: v_dual_mov_b32 v24, v1
	s_wait_kmcnt 0x0
	s_add_nc_u64 s[26:27], s[2:3], 8
	s_mov_b32 s3, 0
.LBB0_2:                                ; =>This Inner Loop Header: Depth=1
	s_load_b64 s[28:29], s[26:27], 0x0
                                        ; implicit-def: $vgpr26_vgpr27
	s_mov_b32 s2, exec_lo
	s_wait_kmcnt 0x0
	v_or_b32_e32 v4, s29, v6
	s_delay_alu instid0(VALU_DEP_1)
	v_cmpx_ne_u64_e32 0, v[3:4]
	s_wait_alu 0xfffe
	s_xor_b32 s30, exec_lo, s2
	s_cbranch_execz .LBB0_4
; %bb.3:                                ;   in Loop: Header=BB0_2 Depth=1
	s_cvt_f32_u32 s2, s28
	s_cvt_f32_u32 s31, s29
	s_sub_nc_u64 s[36:37], 0, s[28:29]
	s_wait_alu 0xfffe
	s_delay_alu instid0(SALU_CYCLE_1) | instskip(SKIP_1) | instid1(SALU_CYCLE_2)
	s_fmamk_f32 s2, s31, 0x4f800000, s2
	s_wait_alu 0xfffe
	v_s_rcp_f32 s2, s2
	s_delay_alu instid0(TRANS32_DEP_1) | instskip(SKIP_1) | instid1(SALU_CYCLE_2)
	s_mul_f32 s2, s2, 0x5f7ffffc
	s_wait_alu 0xfffe
	s_mul_f32 s31, s2, 0x2f800000
	s_wait_alu 0xfffe
	s_delay_alu instid0(SALU_CYCLE_2) | instskip(SKIP_1) | instid1(SALU_CYCLE_2)
	s_trunc_f32 s31, s31
	s_wait_alu 0xfffe
	s_fmamk_f32 s2, s31, 0xcf800000, s2
	s_cvt_u32_f32 s35, s31
	s_wait_alu 0xfffe
	s_delay_alu instid0(SALU_CYCLE_1) | instskip(SKIP_1) | instid1(SALU_CYCLE_2)
	s_cvt_u32_f32 s34, s2
	s_wait_alu 0xfffe
	s_mul_u64 s[38:39], s[36:37], s[34:35]
	s_wait_alu 0xfffe
	s_mul_hi_u32 s41, s34, s39
	s_mul_i32 s40, s34, s39
	s_mul_hi_u32 s2, s34, s38
	s_mul_i32 s33, s35, s38
	s_wait_alu 0xfffe
	s_add_nc_u64 s[40:41], s[2:3], s[40:41]
	s_mul_hi_u32 s31, s35, s38
	s_mul_hi_u32 s42, s35, s39
	s_add_co_u32 s2, s40, s33
	s_wait_alu 0xfffe
	s_add_co_ci_u32 s2, s41, s31
	s_mul_i32 s38, s35, s39
	s_add_co_ci_u32 s39, s42, 0
	s_wait_alu 0xfffe
	s_add_nc_u64 s[38:39], s[2:3], s[38:39]
	s_wait_alu 0xfffe
	v_add_co_u32 v4, s2, s34, s38
	s_delay_alu instid0(VALU_DEP_1) | instskip(SKIP_1) | instid1(VALU_DEP_1)
	s_cmp_lg_u32 s2, 0
	s_add_co_ci_u32 s35, s35, s39
	v_readfirstlane_b32 s34, v4
	s_wait_alu 0xfffe
	s_delay_alu instid0(VALU_DEP_1)
	s_mul_u64 s[36:37], s[36:37], s[34:35]
	s_wait_alu 0xfffe
	s_mul_hi_u32 s39, s34, s37
	s_mul_i32 s38, s34, s37
	s_mul_hi_u32 s2, s34, s36
	s_mul_i32 s33, s35, s36
	s_wait_alu 0xfffe
	s_add_nc_u64 s[38:39], s[2:3], s[38:39]
	s_mul_hi_u32 s31, s35, s36
	s_mul_hi_u32 s34, s35, s37
	s_wait_alu 0xfffe
	s_add_co_u32 s2, s38, s33
	s_add_co_ci_u32 s2, s39, s31
	s_mul_i32 s36, s35, s37
	s_add_co_ci_u32 s37, s34, 0
	s_wait_alu 0xfffe
	s_add_nc_u64 s[36:37], s[2:3], s[36:37]
	s_wait_alu 0xfffe
	v_add_co_u32 v4, s2, v4, s36
	s_delay_alu instid0(VALU_DEP_1) | instskip(SKIP_1) | instid1(VALU_DEP_1)
	s_cmp_lg_u32 s2, 0
	s_add_co_ci_u32 s2, s35, s37
	v_mul_hi_u32 v13, v5, v4
	s_wait_alu 0xfffe
	v_mad_co_u64_u32 v[7:8], null, v5, s2, 0
	v_mad_co_u64_u32 v[9:10], null, v6, v4, 0
	;; [unrolled: 1-line block ×3, first 2 shown]
	s_delay_alu instid0(VALU_DEP_3) | instskip(SKIP_1) | instid1(VALU_DEP_4)
	v_add_co_u32 v4, vcc_lo, v13, v7
	s_wait_alu 0xfffd
	v_add_co_ci_u32_e32 v7, vcc_lo, 0, v8, vcc_lo
	s_delay_alu instid0(VALU_DEP_2) | instskip(SKIP_1) | instid1(VALU_DEP_2)
	v_add_co_u32 v4, vcc_lo, v4, v9
	s_wait_alu 0xfffd
	v_add_co_ci_u32_e32 v4, vcc_lo, v7, v10, vcc_lo
	s_wait_alu 0xfffd
	v_add_co_ci_u32_e32 v7, vcc_lo, 0, v12, vcc_lo
	s_delay_alu instid0(VALU_DEP_2) | instskip(SKIP_1) | instid1(VALU_DEP_2)
	v_add_co_u32 v4, vcc_lo, v4, v11
	s_wait_alu 0xfffd
	v_add_co_ci_u32_e32 v9, vcc_lo, 0, v7, vcc_lo
	s_delay_alu instid0(VALU_DEP_2) | instskip(SKIP_1) | instid1(VALU_DEP_3)
	v_mul_lo_u32 v10, s29, v4
	v_mad_co_u64_u32 v[7:8], null, s28, v4, 0
	v_mul_lo_u32 v11, s28, v9
	s_delay_alu instid0(VALU_DEP_2) | instskip(NEXT) | instid1(VALU_DEP_2)
	v_sub_co_u32 v7, vcc_lo, v5, v7
	v_add3_u32 v8, v8, v11, v10
	s_delay_alu instid0(VALU_DEP_1) | instskip(SKIP_1) | instid1(VALU_DEP_1)
	v_sub_nc_u32_e32 v10, v6, v8
	s_wait_alu 0xfffd
	v_subrev_co_ci_u32_e64 v10, s2, s29, v10, vcc_lo
	v_add_co_u32 v11, s2, v4, 2
	s_wait_alu 0xf1ff
	v_add_co_ci_u32_e64 v12, s2, 0, v9, s2
	v_sub_co_u32 v13, s2, v7, s28
	v_sub_co_ci_u32_e32 v8, vcc_lo, v6, v8, vcc_lo
	s_wait_alu 0xf1ff
	v_subrev_co_ci_u32_e64 v10, s2, 0, v10, s2
	s_delay_alu instid0(VALU_DEP_3) | instskip(NEXT) | instid1(VALU_DEP_3)
	v_cmp_le_u32_e32 vcc_lo, s28, v13
	v_cmp_eq_u32_e64 s2, s29, v8
	s_wait_alu 0xfffd
	v_cndmask_b32_e64 v13, 0, -1, vcc_lo
	v_cmp_le_u32_e32 vcc_lo, s29, v10
	s_wait_alu 0xfffd
	v_cndmask_b32_e64 v14, 0, -1, vcc_lo
	v_cmp_le_u32_e32 vcc_lo, s28, v7
	;; [unrolled: 3-line block ×3, first 2 shown]
	s_wait_alu 0xfffd
	v_cndmask_b32_e64 v15, 0, -1, vcc_lo
	v_cmp_eq_u32_e32 vcc_lo, s29, v10
	s_wait_alu 0xf1ff
	s_delay_alu instid0(VALU_DEP_2)
	v_cndmask_b32_e64 v7, v15, v7, s2
	s_wait_alu 0xfffd
	v_cndmask_b32_e32 v10, v14, v13, vcc_lo
	v_add_co_u32 v13, vcc_lo, v4, 1
	s_wait_alu 0xfffd
	v_add_co_ci_u32_e32 v14, vcc_lo, 0, v9, vcc_lo
	s_delay_alu instid0(VALU_DEP_3) | instskip(SKIP_1) | instid1(VALU_DEP_2)
	v_cmp_ne_u32_e32 vcc_lo, 0, v10
	s_wait_alu 0xfffd
	v_cndmask_b32_e32 v8, v14, v12, vcc_lo
	v_cndmask_b32_e32 v10, v13, v11, vcc_lo
	v_cmp_ne_u32_e32 vcc_lo, 0, v7
	s_wait_alu 0xfffd
	s_delay_alu instid0(VALU_DEP_2)
	v_dual_cndmask_b32 v27, v9, v8 :: v_dual_cndmask_b32 v26, v4, v10
.LBB0_4:                                ;   in Loop: Header=BB0_2 Depth=1
	s_wait_alu 0xfffe
	s_and_not1_saveexec_b32 s2, s30
	s_cbranch_execz .LBB0_6
; %bb.5:                                ;   in Loop: Header=BB0_2 Depth=1
	v_cvt_f32_u32_e32 v4, s28
	s_sub_co_i32 s30, 0, s28
	v_mov_b32_e32 v27, v3
	s_delay_alu instid0(VALU_DEP_2) | instskip(NEXT) | instid1(TRANS32_DEP_1)
	v_rcp_iflag_f32_e32 v4, v4
	v_mul_f32_e32 v4, 0x4f7ffffe, v4
	s_delay_alu instid0(VALU_DEP_1) | instskip(SKIP_1) | instid1(VALU_DEP_1)
	v_cvt_u32_f32_e32 v4, v4
	s_wait_alu 0xfffe
	v_mul_lo_u32 v7, s30, v4
	s_delay_alu instid0(VALU_DEP_1) | instskip(NEXT) | instid1(VALU_DEP_1)
	v_mul_hi_u32 v7, v4, v7
	v_add_nc_u32_e32 v4, v4, v7
	s_delay_alu instid0(VALU_DEP_1) | instskip(NEXT) | instid1(VALU_DEP_1)
	v_mul_hi_u32 v4, v5, v4
	v_mul_lo_u32 v7, v4, s28
	v_add_nc_u32_e32 v8, 1, v4
	s_delay_alu instid0(VALU_DEP_2) | instskip(NEXT) | instid1(VALU_DEP_1)
	v_sub_nc_u32_e32 v7, v5, v7
	v_subrev_nc_u32_e32 v9, s28, v7
	v_cmp_le_u32_e32 vcc_lo, s28, v7
	s_wait_alu 0xfffd
	s_delay_alu instid0(VALU_DEP_2) | instskip(NEXT) | instid1(VALU_DEP_1)
	v_dual_cndmask_b32 v7, v7, v9 :: v_dual_cndmask_b32 v4, v4, v8
	v_cmp_le_u32_e32 vcc_lo, s28, v7
	s_delay_alu instid0(VALU_DEP_2) | instskip(SKIP_1) | instid1(VALU_DEP_1)
	v_add_nc_u32_e32 v8, 1, v4
	s_wait_alu 0xfffd
	v_cndmask_b32_e32 v26, v4, v8, vcc_lo
.LBB0_6:                                ;   in Loop: Header=BB0_2 Depth=1
	s_wait_alu 0xfffe
	s_or_b32 exec_lo, exec_lo, s2
	v_mul_lo_u32 v4, v27, s28
	s_delay_alu instid0(VALU_DEP_2)
	v_mul_lo_u32 v9, v26, s29
	s_load_b64 s[30:31], s[22:23], 0x0
	v_mad_co_u64_u32 v[7:8], null, v26, s28, 0
	s_load_b64 s[28:29], s[20:21], 0x0
	s_add_nc_u64 s[24:25], s[24:25], 1
	s_add_nc_u64 s[20:21], s[20:21], 8
	s_wait_alu 0xfffe
	v_cmp_ge_u64_e64 s2, s[24:25], s[10:11]
	s_add_nc_u64 s[22:23], s[22:23], 8
	s_add_nc_u64 s[26:27], s[26:27], 8
	v_add3_u32 v4, v8, v9, v4
	v_sub_co_u32 v5, vcc_lo, v5, v7
	s_wait_alu 0xfffd
	s_delay_alu instid0(VALU_DEP_2) | instskip(SKIP_2) | instid1(VALU_DEP_1)
	v_sub_co_ci_u32_e32 v4, vcc_lo, v6, v4, vcc_lo
	s_and_b32 vcc_lo, exec_lo, s2
	s_wait_kmcnt 0x0
	v_mul_lo_u32 v6, s30, v4
	v_mul_lo_u32 v7, s31, v5
	v_mad_co_u64_u32 v[1:2], null, s30, v5, v[1:2]
	v_mul_lo_u32 v4, s28, v4
	v_mul_lo_u32 v8, s29, v5
	v_mad_co_u64_u32 v[24:25], null, s28, v5, v[24:25]
	s_delay_alu instid0(VALU_DEP_4) | instskip(NEXT) | instid1(VALU_DEP_2)
	v_add3_u32 v2, v7, v2, v6
	v_add3_u32 v25, v8, v25, v4
	s_wait_alu 0xfffe
	s_cbranch_vccnz .LBB0_9
; %bb.7:                                ;   in Loop: Header=BB0_2 Depth=1
	v_dual_mov_b32 v5, v26 :: v_dual_mov_b32 v6, v27
	s_branch .LBB0_2
.LBB0_8:
	s_delay_alu instid0(VALU_DEP_2) | instskip(NEXT) | instid1(VALU_DEP_2)
	v_dual_mov_b32 v25, v2 :: v_dual_mov_b32 v24, v1
	v_dual_mov_b32 v27, v6 :: v_dual_mov_b32 v26, v5
.LBB0_9:
	s_load_b64 s[0:1], s[0:1], 0x28
	v_mul_hi_u32 v4, 0x2302303, v0
	s_lshl_b64 s[10:11], s[10:11], 3
                                        ; implicit-def: $vgpr34
                                        ; implicit-def: $vgpr35
                                        ; implicit-def: $vgpr36
	s_wait_alu 0xfffe
	s_add_nc_u64 s[2:3], s[14:15], s[10:11]
                                        ; implicit-def: $sgpr14
	s_wait_kmcnt 0x0
	v_cmp_gt_u64_e32 vcc_lo, s[0:1], v[26:27]
	v_cmp_le_u64_e64 s0, s[0:1], v[26:27]
	s_delay_alu instid0(VALU_DEP_1)
	s_and_saveexec_b32 s1, s0
	s_wait_alu 0xfffe
	s_xor_b32 s0, exec_lo, s1
; %bb.10:
	v_mul_u32_u24_e32 v1, 0x75, v4
	s_mov_b32 s14, 0
                                        ; implicit-def: $vgpr4
	s_delay_alu instid0(VALU_DEP_1) | instskip(NEXT) | instid1(VALU_DEP_1)
	v_sub_nc_u32_e32 v34, v0, v1
                                        ; implicit-def: $vgpr0
                                        ; implicit-def: $vgpr1_vgpr2
	v_add_nc_u32_e32 v35, 0x75, v34
	v_add_nc_u32_e32 v36, 0xea, v34
; %bb.11:
	s_wait_alu 0xfffe
	s_or_saveexec_b32 s1, s0
	s_load_b64 s[2:3], s[2:3], 0x0
	v_mov_b32_e32 v33, s14
                                        ; implicit-def: $vgpr9
                                        ; implicit-def: $vgpr5
                                        ; implicit-def: $vgpr3
                                        ; implicit-def: $vgpr7
                                        ; implicit-def: $vgpr21
                                        ; implicit-def: $vgpr15
                                        ; implicit-def: $vgpr13
                                        ; implicit-def: $vgpr32
                                        ; implicit-def: $vgpr30
                                        ; implicit-def: $vgpr19
                                        ; implicit-def: $vgpr11
                                        ; implicit-def: $vgpr17
	s_xor_b32 exec_lo, exec_lo, s1
	s_cbranch_execz .LBB0_15
; %bb.12:
	s_add_nc_u64 s[10:11], s[12:13], s[10:11]
	v_mul_u32_u24_e32 v3, 0x75, v4
	s_load_b64 s[10:11], s[10:11], 0x0
	v_lshlrev_b64_e32 v[1:2], 3, v[1:2]
	s_delay_alu instid0(VALU_DEP_2) | instskip(NEXT) | instid1(VALU_DEP_1)
	v_sub_nc_u32_e32 v34, v0, v3
	v_mad_co_u64_u32 v[3:4], null, s18, v34, 0
	v_add_nc_u32_e32 v15, 0x1ad, v34
	v_add_nc_u32_e32 v16, 0x35a, v34
	;; [unrolled: 1-line block ×5, first 2 shown]
	v_dual_mov_b32 v0, v4 :: v_dual_add_nc_u32 v19, 0x3cf, v34
	v_mad_co_u64_u32 v[5:6], null, s18, v15, 0
	v_add_nc_u32_e32 v35, 0x75, v34
	s_wait_kmcnt 0x0
	v_mul_lo_u32 v4, s11, v26
	v_mul_lo_u32 v17, s10, v27
	v_mad_co_u64_u32 v[11:12], null, s10, v26, 0
	v_mad_co_u64_u32 v[7:8], null, s18, v16, 0
	;; [unrolled: 1-line block ×3, first 2 shown]
	v_mov_b32_e32 v0, v6
	v_mad_co_u64_u32 v[9:10], null, s18, v35, 0
	v_add3_u32 v12, v12, v17, v4
	v_mov_b32_e32 v6, v8
	s_delay_alu instid0(VALU_DEP_4)
	v_mad_co_u64_u32 v[14:15], null, s19, v15, v[0:1]
	v_dual_mov_b32 v4, v13 :: v_dual_add_nc_u32 v31, 0x444, v34
	v_mov_b32_e32 v8, v10
	v_lshlrev_b64_e32 v[10:11], 3, v[11:12]
	v_mad_co_u64_u32 v[15:16], null, s19, v16, v[6:7]
	v_mov_b32_e32 v6, v14
	s_delay_alu instid0(VALU_DEP_4) | instskip(NEXT) | instid1(VALU_DEP_4)
	v_mad_co_u64_u32 v[12:13], null, s19, v35, v[8:9]
	v_add_co_u32 v0, s0, s4, v10
	s_wait_alu 0xf1ff
	v_add_co_ci_u32_e64 v10, s0, s5, v11, s0
	v_lshlrev_b64_e32 v[3:4], 3, v[3:4]
	s_delay_alu instid0(VALU_DEP_3) | instskip(SKIP_1) | instid1(VALU_DEP_3)
	v_add_co_u32 v0, s0, v0, v1
	s_wait_alu 0xf1ff
	v_add_co_ci_u32_e64 v1, s0, v10, v2, s0
	v_lshlrev_b64_e32 v[5:6], 3, v[5:6]
	v_mad_co_u64_u32 v[13:14], null, s18, v18, 0
	v_mov_b32_e32 v10, v12
	v_mov_b32_e32 v8, v15
	v_add_co_u32 v2, s0, v0, v3
	s_wait_alu 0xf1ff
	v_add_co_ci_u32_e64 v3, s0, v1, v4, s0
	v_mad_co_u64_u32 v[11:12], null, s18, v19, 0
	v_add_co_u32 v4, s0, v0, v5
	v_lshlrev_b64_e32 v[9:10], 3, v[9:10]
	s_wait_alu 0xf1ff
	v_add_co_ci_u32_e64 v5, s0, v1, v6, s0
	v_lshlrev_b64_e32 v[6:7], 3, v[7:8]
	v_mov_b32_e32 v8, v14
	v_mad_co_u64_u32 v[28:29], null, s18, v31, 0
	s_mov_b32 s4, exec_lo
	s_delay_alu instid0(VALU_DEP_2) | instskip(SKIP_3) | instid1(VALU_DEP_3)
	v_mad_co_u64_u32 v[14:15], null, s19, v18, v[8:9]
	v_mov_b32_e32 v8, v12
	v_mad_co_u64_u32 v[15:16], null, s18, v36, 0
	v_add_co_u32 v6, s0, v0, v6
	v_mad_co_u64_u32 v[19:20], null, s19, v19, v[8:9]
	v_mad_co_u64_u32 v[20:21], null, s18, v30, 0
	s_wait_alu 0xf1ff
	v_add_co_ci_u32_e64 v7, s0, v1, v7, s0
	v_add_co_u32 v17, s0, v0, v9
	v_mov_b32_e32 v8, v16
	s_wait_alu 0xf1ff
	v_add_co_ci_u32_e64 v18, s0, v1, v10, s0
	v_mov_b32_e32 v10, v21
	v_mov_b32_e32 v12, v19
	v_mad_co_u64_u32 v[22:23], null, s19, v36, v[8:9]
	s_clause 0x3
	global_load_b64 v[8:9], v[2:3], off
	global_load_b64 v[4:5], v[4:5], off
	;; [unrolled: 1-line block ×4, first 2 shown]
	v_mad_co_u64_u32 v[17:18], null, s19, v30, v[10:11]
	v_lshlrev_b64_e32 v[11:12], 3, v[11:12]
	v_mov_b32_e32 v10, v29
	v_lshlrev_b64_e32 v[13:14], 3, v[13:14]
	v_mov_b32_e32 v16, v22
	s_delay_alu instid0(VALU_DEP_3) | instskip(NEXT) | instid1(VALU_DEP_3)
	v_mad_co_u64_u32 v[18:19], null, s19, v31, v[10:11]
	v_add_co_u32 v13, s0, v0, v13
	s_delay_alu instid0(VALU_DEP_3)
	v_lshlrev_b64_e32 v[15:16], 3, v[15:16]
	v_mov_b32_e32 v21, v17
	s_wait_alu 0xf1ff
	v_add_co_ci_u32_e64 v14, s0, v1, v14, s0
	v_add_co_u32 v10, s0, v0, v11
	v_mov_b32_e32 v29, v18
	s_wait_alu 0xf1ff
	v_add_co_ci_u32_e64 v11, s0, v1, v12, s0
	v_lshlrev_b64_e32 v[19:20], 3, v[20:21]
	v_add_co_u32 v17, s0, v0, v15
	s_wait_alu 0xf1ff
	v_add_co_ci_u32_e64 v18, s0, v1, v16, s0
	v_lshlrev_b64_e32 v[15:16], 3, v[28:29]
	s_delay_alu instid0(VALU_DEP_4) | instskip(SKIP_2) | instid1(VALU_DEP_3)
	v_add_co_u32 v22, s0, v0, v19
	s_wait_alu 0xf1ff
	v_add_co_ci_u32_e64 v23, s0, v1, v20, s0
                                        ; implicit-def: $vgpr31
	v_add_co_u32 v28, s0, v0, v15
	s_wait_alu 0xf1ff
	v_add_co_ci_u32_e64 v29, s0, v1, v16, s0
	s_clause 0x4
	global_load_b64 v[20:21], v[13:14], off
	global_load_b64 v[14:15], v[10:11], off
	;; [unrolled: 1-line block ×5, first 2 shown]
                                        ; implicit-def: $vgpr18
                                        ; implicit-def: $vgpr29
	v_cmpx_gt_u32_e32 0x4e, v34
	s_cbranch_execz .LBB0_14
; %bb.13:
	v_add_nc_u32_e32 v30, 0x15f, v34
	v_add_nc_u32_e32 v33, 0x4b9, v34
	s_delay_alu instid0(VALU_DEP_2) | instskip(NEXT) | instid1(VALU_DEP_2)
	v_mad_co_u64_u32 v[18:19], null, s18, v30, 0
	v_mad_co_u64_u32 v[28:29], null, s18, v33, 0
	s_wait_loadcnt 0x4
	s_delay_alu instid0(VALU_DEP_2) | instskip(NEXT) | instid1(VALU_DEP_1)
	v_mad_co_u64_u32 v[30:31], null, s19, v30, v[19:20]
	v_dual_mov_b32 v19, v30 :: v_dual_add_nc_u32 v32, 0x30c, v34
	s_delay_alu instid0(VALU_DEP_1) | instskip(NEXT) | instid1(VALU_DEP_2)
	v_mad_co_u64_u32 v[22:23], null, s18, v32, 0
	v_lshlrev_b64_e32 v[18:19], 3, v[18:19]
	s_delay_alu instid0(VALU_DEP_2) | instskip(SKIP_1) | instid1(VALU_DEP_3)
	v_mad_co_u64_u32 v[31:32], null, s19, v32, v[23:24]
	v_mad_co_u64_u32 v[32:33], null, s19, v33, v[29:30]
	v_add_co_u32 v18, s0, v0, v18
	s_wait_alu 0xf1ff
	s_delay_alu instid0(VALU_DEP_4) | instskip(NEXT) | instid1(VALU_DEP_4)
	v_add_co_ci_u32_e64 v19, s0, v1, v19, s0
	v_mov_b32_e32 v23, v31
	s_delay_alu instid0(VALU_DEP_4) | instskip(NEXT) | instid1(VALU_DEP_2)
	v_mov_b32_e32 v29, v32
	v_lshlrev_b64_e32 v[22:23], 3, v[22:23]
	s_delay_alu instid0(VALU_DEP_2) | instskip(NEXT) | instid1(VALU_DEP_2)
	v_lshlrev_b64_e32 v[28:29], 3, v[28:29]
	v_add_co_u32 v22, s0, v0, v22
	s_wait_alu 0xf1ff
	s_delay_alu instid0(VALU_DEP_3) | instskip(NEXT) | instid1(VALU_DEP_3)
	v_add_co_ci_u32_e64 v23, s0, v1, v23, s0
	v_add_co_u32 v0, s0, v0, v28
	s_wait_alu 0xf1ff
	v_add_co_ci_u32_e64 v1, s0, v1, v29, s0
	s_clause 0x2
	global_load_b64 v[18:19], v[18:19], off
	global_load_b64 v[29:30], v[22:23], off
	;; [unrolled: 1-line block ×3, first 2 shown]
.LBB0_14:
	s_wait_alu 0xfffe
	s_or_b32 exec_lo, exec_lo, s4
	v_mov_b32_e32 v33, v34
.LBB0_15:
	s_or_b32 exec_lo, exec_lo, s1
	s_wait_loadcnt 0x6
	v_dual_add_f32 v0, v4, v2 :: v_dual_add_f32 v23, v5, v3
	v_dual_add_f32 v1, v8, v4 :: v_dual_sub_f32 v22, v5, v3
	v_sub_f32_e32 v4, v4, v2
	s_delay_alu instid0(VALU_DEP_3) | instskip(NEXT) | instid1(VALU_DEP_3)
	v_dual_fmac_f32 v8, -0.5, v0 :: v_dual_add_f32 v5, v9, v5
	v_dual_fmac_f32 v9, -0.5, v23 :: v_dual_add_f32 v0, v1, v2
	v_cmp_gt_u32_e64 s0, 0x4e, v34
	s_delay_alu instid0(VALU_DEP_3) | instskip(SKIP_4) | instid1(VALU_DEP_3)
	v_dual_fmamk_f32 v2, v22, 0x3f5db3d7, v8 :: v_dual_add_f32 v1, v5, v3
	s_wait_loadcnt 0x3
	v_add_f32_e32 v5, v20, v14
	v_dual_fmac_f32 v8, 0xbf5db3d7, v22 :: v_dual_add_f32 v23, v21, v15
	v_dual_fmamk_f32 v3, v4, 0xbf5db3d7, v9 :: v_dual_add_f32 v22, v6, v20
	v_dual_fmac_f32 v9, 0x3f5db3d7, v4 :: v_dual_fmac_f32 v6, -0.5, v5
	v_sub_f32_e32 v5, v21, v15
	v_dual_add_f32 v21, v7, v21 :: v_dual_sub_f32 v20, v20, v14
	s_delay_alu instid0(VALU_DEP_4) | instskip(NEXT) | instid1(VALU_DEP_3)
	v_dual_add_f32 v4, v22, v14 :: v_dual_fmac_f32 v7, -0.5, v23
	v_fmamk_f32 v14, v5, 0x3f5db3d7, v6
	s_delay_alu instid0(VALU_DEP_3) | instskip(SKIP_4) | instid1(VALU_DEP_2)
	v_dual_fmac_f32 v6, 0xbf5db3d7, v5 :: v_dual_add_f32 v5, v21, v15
	s_wait_loadcnt 0x0
	v_add_f32_e32 v21, v10, v16
	v_dual_add_f32 v22, v16, v12 :: v_dual_add_f32 v23, v11, v17
	v_fmamk_f32 v15, v20, 0xbf5db3d7, v7
	v_dual_fmac_f32 v7, 0x3f5db3d7, v20 :: v_dual_add_f32 v20, v10, v22
	v_sub_f32_e32 v10, v16, v10
	v_dual_fmac_f32 v12, -0.5, v21 :: v_dual_sub_f32 v21, v17, v11
	v_add_f32_e32 v17, v17, v13
	v_dual_fmac_f32 v13, -0.5, v23 :: v_dual_add_f32 v16, v29, v18
	s_delay_alu instid0(VALU_DEP_1)
	v_dual_fmamk_f32 v23, v10, 0xbf5db3d7, v13 :: v_dual_add_f32 v28, v31, v16
	v_fmac_f32_e32 v13, 0x3f5db3d7, v10
	v_add_f32_e32 v10, v32, v30
	v_fmamk_f32 v22, v21, 0x3f5db3d7, v12
	v_fmac_f32_e32 v12, 0xbf5db3d7, v21
	v_add_f32_e32 v21, v11, v17
	v_add_f32_e32 v11, v31, v29
	;; [unrolled: 1-line block ×3, first 2 shown]
	s_delay_alu instid0(VALU_DEP_2) | instskip(SKIP_1) | instid1(VALU_DEP_3)
	v_dual_fmac_f32 v18, -0.5, v11 :: v_dual_sub_f32 v11, v30, v32
	v_dual_sub_f32 v30, v29, v31 :: v_dual_fmac_f32 v19, -0.5, v10
	v_add_f32_e32 v29, v32, v17
	v_mad_u32_u24 v10, v34, 24, 0
	s_delay_alu instid0(VALU_DEP_4) | instskip(NEXT) | instid1(VALU_DEP_4)
	v_fmamk_f32 v16, v11, 0x3f5db3d7, v18
	v_dual_fmac_f32 v18, 0xbf5db3d7, v11 :: v_dual_fmamk_f32 v17, v30, 0xbf5db3d7, v19
	v_fmac_f32_e32 v19, 0x3f5db3d7, v30
	v_mad_i32_i24 v11, v35, 24, 0
	v_mad_i32_i24 v30, v36, 24, 0
	ds_store_2addr_b64 v10, v[0:1], v[2:3] offset1:1
	ds_store_b64 v10, v[8:9] offset:16
	ds_store_2addr_b64 v11, v[4:5], v[14:15] offset1:1
	ds_store_b64 v11, v[6:7] offset:16
	;; [unrolled: 2-line block ×3, first 2 shown]
	s_and_saveexec_b32 s1, s0
	s_cbranch_execz .LBB0_17
; %bb.16:
	v_add_nc_u32_e32 v11, 0x20e8, v10
	ds_store_2addr_b64 v11, v[28:29], v[16:17] offset1:1
	ds_store_b64 v10, v[18:19] offset:8440
.LBB0_17:
	s_wait_alu 0xfffe
	s_or_b32 exec_lo, exec_lo, s1
	v_cmp_gt_u32_e64 s1, 0x63, v34
	global_wb scope:SCOPE_SE
	s_wait_dscnt 0x0
	s_wait_kmcnt 0x0
	s_barrier_signal -1
	s_barrier_wait -1
	global_inv scope:SCOPE_SE
                                        ; implicit-def: $vgpr31
	s_and_saveexec_b32 s4, s1
	s_cbranch_execz .LBB0_19
; %bb.18:
	v_lshlrev_b32_e32 v0, 4, v34
	s_delay_alu instid0(VALU_DEP_1) | instskip(NEXT) | instid1(VALU_DEP_1)
	v_sub_nc_u32_e32 v20, v10, v0
	v_add_nc_u32_e32 v0, 0x1c00, v20
	v_add_nc_u32_e32 v1, 0x1800, v20
	;; [unrolled: 1-line block ×3, first 2 shown]
	ds_load_2addr_b64 v[16:19], v0 offset0:94 offset1:193
	v_add_nc_u32_e32 v0, 0x400, v20
	ds_load_2addr_b64 v[12:15], v1 offset0:24 offset1:123
	ds_load_2addr_b64 v[4:7], v2 offset0:140 offset1:239
	ds_load_2addr_b64 v[8:11], v0 offset0:70 offset1:169
	s_wait_dscnt 0x2
	v_dual_mov_b32 v28, v14 :: v_dual_add_nc_u32 v21, 0x1000, v20
	s_wait_dscnt 0x1
	v_mov_b32_e32 v14, v4
	ds_load_2addr_b64 v[0:3], v20 offset1:99
	ds_load_b64 v[30:31], v20 offset:9504
	ds_load_2addr_b64 v[20:23], v21 offset0:82 offset1:181
	v_mov_b32_e32 v29, v15
	v_mov_b32_e32 v15, v5
	s_wait_dscnt 0x3
	v_dual_mov_b32 v5, v11 :: v_dual_mov_b32 v4, v10
.LBB0_19:
	s_wait_alu 0xfffe
	s_or_b32 exec_lo, exec_lo, s4
	v_and_b32_e32 v32, 0xff, v34
	s_delay_alu instid0(VALU_DEP_1) | instskip(NEXT) | instid1(VALU_DEP_1)
	v_mul_lo_u16 v10, 0xab, v32
	v_lshrrev_b16 v11, 9, v10
	s_delay_alu instid0(VALU_DEP_1) | instskip(NEXT) | instid1(VALU_DEP_1)
	v_mul_lo_u16 v10, v11, 3
	v_sub_nc_u16 v10, v34, v10
	s_delay_alu instid0(VALU_DEP_1) | instskip(NEXT) | instid1(VALU_DEP_1)
	v_and_b32_e32 v10, 0xff, v10
	v_mul_u32_u24_e32 v37, 12, v10
	s_delay_alu instid0(VALU_DEP_1)
	v_lshlrev_b32_e32 v37, 3, v37
	s_clause 0x5
	global_load_b128 v[47:50], v37, s[8:9]
	global_load_b128 v[59:62], v37, s[8:9] offset:16
	global_load_b128 v[63:66], v37, s[8:9] offset:32
	;; [unrolled: 1-line block ×5, first 2 shown]
	global_wb scope:SCOPE_SE
	s_wait_loadcnt_dscnt 0x0
	s_barrier_signal -1
	s_barrier_wait -1
	global_inv scope:SCOPE_SE
	v_mul_f32_e32 v52, v2, v48
	v_mul_f32_e32 v51, v3, v48
	;; [unrolled: 1-line block ×3, first 2 shown]
	v_dual_mul_f32 v46, v4, v60 :: v_dual_mul_f32 v45, v14, v62
	v_mul_f32_e32 v48, v9, v50
	v_dual_mul_f32 v60, v7, v64 :: v_dual_mul_f32 v43, v20, v66
	v_dual_mul_f32 v44, v6, v64 :: v_dual_mul_f32 v41, v12, v70
	v_mul_f32_e32 v54, v15, v62
	v_dual_mul_f32 v64, v23, v68 :: v_dual_mul_f32 v39, v16, v74
	v_mul_f32_e32 v42, v22, v68
	v_dual_mul_f32 v68, v29, v72 :: v_dual_mul_f32 v37, v30, v78
	v_dual_mul_f32 v50, v8, v50 :: v_dual_fmac_f32 v43, v21, v65
	v_dual_mul_f32 v62, v21, v66 :: v_dual_fmac_f32 v45, v15, v61
	s_delay_alu instid0(VALU_DEP_3)
	v_fmac_f32_e32 v37, v31, v77
	v_fma_f32 v57, v8, v49, -v48
	v_dual_fmac_f32 v44, v7, v63 :: v_dual_fmac_f32 v41, v13, v69
	v_mul_f32_e32 v38, v18, v76
	v_fma_f32 v55, v14, v61, -v54
	v_fma_f32 v48, v28, v71, -v68
	v_fmac_f32_e32 v50, v9, v49
	v_fma_f32 v56, v4, v59, -v53
	v_fma_f32 v53, v20, v65, -v62
	v_add_f32_e32 v21, v44, v41
	v_sub_f32_e32 v65, v55, v48
	v_fmac_f32_e32 v38, v19, v75
	v_mul_f32_e32 v40, v28, v72
	v_mul_f32_e32 v72, v19, v76
	v_dual_fmac_f32 v46, v5, v59 :: v_dual_sub_f32 v61, v44, v41
	s_delay_alu instid0(VALU_DEP_3) | instskip(SKIP_3) | instid1(VALU_DEP_4)
	v_dual_add_f32 v7, v50, v38 :: v_dual_fmac_f32 v40, v29, v71
	v_dual_fmac_f32 v52, v3, v47 :: v_dual_fmac_f32 v39, v17, v73
	v_fma_f32 v58, v2, v47, -v51
	v_fma_f32 v51, v22, v67, -v64
	v_add_f32_e32 v19, v45, v40
	s_delay_alu instid0(VALU_DEP_4) | instskip(SKIP_3) | instid1(VALU_DEP_4)
	v_dual_mul_f32 v66, v13, v70 :: v_dual_add_f32 v5, v52, v37
	v_dual_mul_f32 v70, v17, v74 :: v_dual_add_f32 v9, v46, v39
	v_dual_mul_f32 v74, v31, v78 :: v_dual_sub_f32 v59, v46, v39
	v_fma_f32 v54, v6, v63, -v60
	v_fma_f32 v49, v12, v69, -v66
	s_delay_alu instid0(VALU_DEP_4) | instskip(NEXT) | instid1(VALU_DEP_4)
	v_fma_f32 v47, v16, v73, -v70
	v_fma_f32 v22, v30, v77, -v74
	v_mul_f32_e32 v93, 0x3eedf032, v65
	s_delay_alu instid0(VALU_DEP_2)
	v_dual_mul_f32 v107, 0xbf7e222b, v65 :: v_dual_sub_f32 v62, v58, v22
	v_sub_f32_e32 v30, v52, v37
	v_fmac_f32_e32 v42, v23, v67
	v_dual_sub_f32 v67, v53, v51 :: v_dual_add_f32 v4, v58, v22
	v_add_f32_e32 v23, v53, v51
	v_mul_f32_e32 v99, 0xbf6f5d39, v62
	v_mul_f32_e32 v91, 0xbf7e222b, v30
	v_dual_sub_f32 v63, v43, v42 :: v_dual_sub_f32 v66, v54, v49
	v_mul_f32_e32 v97, 0xbf6f5d39, v30
	v_sub_f32_e32 v31, v50, v38
	v_fma_f32 v29, v18, v75, -v72
	s_delay_alu instid0(VALU_DEP_4) | instskip(SKIP_3) | instid1(VALU_DEP_4)
	v_dual_mul_f32 v69, 0x3eedf032, v63 :: v_dual_sub_f32 v60, v45, v40
	v_dual_mul_f32 v73, 0x3f7e222b, v66 :: v_dual_sub_f32 v68, v56, v47
	v_mul_f32_e32 v82, 0xbf52af12, v62
	v_add_f32_e32 v18, v55, v48
	v_dual_mul_f32 v83, 0x3eedf032, v60 :: v_dual_sub_f32 v64, v57, v29
	s_delay_alu instid0(VALU_DEP_4) | instskip(NEXT) | instid1(VALU_DEP_4)
	v_dual_mul_f32 v79, 0xbe750f2a, v68 :: v_dual_add_f32 v8, v56, v47
	v_fma_f32 v3, 0x3f116cb1, v5, -v82
	v_mul_f32_e32 v94, 0xbf7e222b, v62
	s_delay_alu instid0(VALU_DEP_4) | instskip(NEXT) | instid1(VALU_DEP_4)
	v_mul_f32_e32 v81, 0xbf6f5d39, v64
	v_fma_f32 v87, 0xbf788fa5, v9, -v79
	v_fma_f32 v122, 0xbeb58ec6, v5, -v99
	v_add_f32_e32 v3, v1, v3
	v_fma_f32 v13, 0x3df6dbef, v5, -v94
	v_fma_f32 v15, 0xbeb58ec6, v7, -v81
	v_mul_f32_e32 v100, 0x3f29c268, v64
	v_add_f32_e32 v122, v1, v122
	v_dual_add_f32 v20, v54, v49 :: v_dual_mul_f32 v95, 0x3f6f5d39, v68
	s_delay_alu instid0(VALU_DEP_4) | instskip(SKIP_1) | instid1(VALU_DEP_3)
	v_dual_add_f32 v3, v15, v3 :: v_dual_mul_f32 v72, 0x3f29c268, v60
	v_dual_mul_f32 v90, 0xbe750f2a, v31 :: v_dual_add_f32 v13, v1, v13
	v_fma_f32 v89, 0xbeb58ec6, v9, -v95
	s_delay_alu instid0(VALU_DEP_3) | instskip(NEXT) | instid1(VALU_DEP_4)
	v_add_f32_e32 v3, v87, v3
	v_fmamk_f32 v109, v18, 0xbf3f9e67, v72
	v_fmamk_f32 v121, v4, 0xbeb58ec6, v97
	v_mul_f32_e32 v96, 0xbe750f2a, v64
	v_mul_f32_e32 v77, 0xbf52af12, v30
	v_dual_mul_f32 v105, 0x3eedf032, v59 :: v_dual_mul_f32 v108, 0x3eedf032, v68
	s_delay_alu instid0(VALU_DEP_4) | instskip(NEXT) | instid1(VALU_DEP_4)
	v_add_f32_e32 v121, v0, v121
	v_fma_f32 v17, 0xbf788fa5, v7, -v96
	v_mul_f32_e32 v98, 0x3f29c268, v31
	v_fma_f32 v112, 0x3f62ad3f, v19, -v93
	v_fma_f32 v124, 0xbf3f9e67, v7, -v100
	v_dual_add_f32 v6, v57, v29 :: v_dual_mul_f32 v75, 0xbf6f5d39, v31
	v_dual_add_f32 v13, v17, v13 :: v_dual_mul_f32 v86, 0x3f6f5d39, v59
	s_delay_alu instid0(VALU_DEP_3) | instskip(NEXT) | instid1(VALU_DEP_2)
	v_dual_mul_f32 v74, 0xbe750f2a, v59 :: v_dual_add_f32 v15, v124, v122
	v_dual_fmamk_f32 v2, v4, 0x3f116cb1, v77 :: v_dual_add_f32 v13, v89, v13
	v_mul_f32_e32 v92, 0xbf52af12, v66
	v_fma_f32 v126, 0x3f62ad3f, v9, -v108
	v_mul_f32_e32 v76, 0x3f29c268, v65
	s_delay_alu instid0(VALU_DEP_4)
	v_dual_mul_f32 v101, 0x3f52af12, v63 :: v_dual_add_f32 v2, v0, v2
	v_add_f32_e32 v13, v112, v13
	v_fma_f32 v116, 0x3f116cb1, v21, -v92
	v_mul_f32_e32 v78, 0xbf29c268, v63
	v_add_f32_e32 v15, v126, v15
	v_fma_f32 v110, 0xbf3f9e67, v19, -v76
	v_dual_add_f32 v28, v43, v42 :: v_dual_mul_f32 v71, 0x3eedf032, v67
	v_dual_add_f32 v13, v116, v13 :: v_dual_fmamk_f32 v14, v6, 0xbeb58ec6, v75
	s_delay_alu instid0(VALU_DEP_3) | instskip(SKIP_2) | instid1(VALU_DEP_4)
	v_dual_mul_f32 v70, 0x3f7e222b, v61 :: v_dual_add_f32 v3, v110, v3
	v_fmamk_f32 v85, v8, 0xbf788fa5, v74
	v_fma_f32 v114, 0x3df6dbef, v21, -v73
	v_add_f32_e32 v2, v14, v2
	v_mul_f32_e32 v104, 0xbf7e222b, v60
	v_fmamk_f32 v123, v6, 0xbf3f9e67, v98
	v_fma_f32 v128, 0x3df6dbef, v19, -v107
	v_mul_f32_e32 v80, 0xbf52af12, v61
	v_fmamk_f32 v113, v20, 0x3df6dbef, v70
	v_fma_f32 v118, 0x3f62ad3f, v28, -v71
	v_add_f32_e32 v14, v123, v121
	v_dual_add_f32 v2, v85, v2 :: v_dual_add_f32 v15, v128, v15
	v_fmamk_f32 v115, v20, 0x3f116cb1, v80
	v_dual_add_f32 v3, v114, v3 :: v_dual_mul_f32 v106, 0x3e750f2a, v66
	v_dual_fmamk_f32 v12, v4, 0x3df6dbef, v91 :: v_dual_fmamk_f32 v127, v18, 0x3df6dbef, v104
	v_fmamk_f32 v125, v8, 0x3f62ad3f, v105
	v_fmamk_f32 v119, v23, 0xbf3f9e67, v78
	s_delay_alu instid0(VALU_DEP_4) | instskip(SKIP_3) | instid1(VALU_DEP_4)
	v_fma_f32 v130, 0xbf788fa5, v21, -v106
	v_mul_f32_e32 v102, 0x3e750f2a, v61
	v_add_f32_e32 v2, v109, v2
	v_dual_add_f32 v14, v125, v14 :: v_dual_mul_f32 v103, 0x3f52af12, v67
	v_dual_add_f32 v12, v0, v12 :: v_dual_add_f32 v87, v130, v15
	s_delay_alu instid0(VALU_DEP_3) | instskip(NEXT) | instid1(VALU_DEP_3)
	v_dual_fmamk_f32 v129, v20, 0xbf788fa5, v102 :: v_dual_add_f32 v2, v113, v2
	v_add_f32_e32 v14, v127, v14
	v_mul_f32_e32 v84, 0xbf29c268, v67
	v_fma_f32 v132, 0x3f116cb1, v28, -v103
	v_fmamk_f32 v16, v6, 0xbf788fa5, v90
	s_delay_alu instid0(VALU_DEP_4) | instskip(NEXT) | instid1(VALU_DEP_4)
	v_dual_fmamk_f32 v88, v8, 0xbeb58ec6, v86 :: v_dual_add_f32 v85, v129, v14
	v_fma_f32 v120, 0xbf3f9e67, v28, -v84
	v_add_f32_e32 v15, v118, v3
	s_delay_alu instid0(VALU_DEP_2) | instskip(SKIP_2) | instid1(VALU_DEP_1)
	v_add_f32_e32 v17, v120, v13
	v_add_f32_e32 v13, v132, v87
	v_dual_fmamk_f32 v111, v18, 0x3f62ad3f, v83 :: v_dual_add_f32 v12, v16, v12
	v_dual_fmamk_f32 v117, v23, 0x3f62ad3f, v69 :: v_dual_add_f32 v12, v88, v12
	s_delay_alu instid0(VALU_DEP_1) | instskip(NEXT) | instid1(VALU_DEP_2)
	v_dual_fmamk_f32 v131, v23, 0x3f116cb1, v101 :: v_dual_add_f32 v14, v117, v2
	v_add_f32_e32 v12, v111, v12
	s_delay_alu instid0(VALU_DEP_1) | instskip(NEXT) | instid1(VALU_DEP_1)
	v_add_f32_e32 v12, v115, v12
	v_add_f32_e32 v16, v119, v12
	s_delay_alu instid0(VALU_DEP_4)
	v_add_f32_e32 v12, v131, v85
	s_and_saveexec_b32 s4, s1
	s_cbranch_execz .LBB0_21
; %bb.20:
	v_mul_f32_e32 v111, 0xbe750f2a, v30
	v_mul_f32_e32 v133, 0xbf3f9e67, v7
	;; [unrolled: 1-line block ×4, first 2 shown]
	v_dual_mul_f32 v118, 0x3f7e222b, v63 :: v_dual_mul_f32 v123, 0x3f7e222b, v64
	v_fma_f32 v3, 0xbf788fa5, v4, -v111
	v_add_f32_e32 v100, v100, v133
	v_fmamk_f32 v122, v5, 0xbf3f9e67, v119
	v_mul_f32_e32 v110, 0x3eedf032, v64
	v_fma_f32 v114, 0x3f62ad3f, v6, -v88
	v_add_f32_e32 v3, v0, v3
	v_fma_f32 v121, 0x3df6dbef, v23, -v118
	v_mul_f32_e32 v109, 0xbe750f2a, v62
	v_dual_add_f32 v122, v1, v122 :: v_dual_mul_f32 v125, 0xbf52af12, v68
	s_delay_alu instid0(VALU_DEP_4) | instskip(NEXT) | instid1(VALU_DEP_3)
	v_dual_fmamk_f32 v124, v7, 0x3df6dbef, v123 :: v_dual_add_f32 v3, v114, v3
	v_fmamk_f32 v2, v5, 0xbf788fa5, v109
	v_mul_f32_e32 v113, 0x3f52af12, v65
	s_delay_alu instid0(VALU_DEP_3) | instskip(SKIP_4) | instid1(VALU_DEP_4)
	v_dual_mul_f32 v127, 0xbf52af12, v59 :: v_dual_add_f32 v122, v124, v122
	v_fmamk_f32 v124, v9, 0x3f116cb1, v125
	v_dual_mul_f32 v128, 0x3e750f2a, v65 :: v_dual_mul_f32 v129, 0x3e750f2a, v60
	v_dual_mul_f32 v112, 0xbf29c268, v68 :: v_dual_mul_f32 v87, 0xbf29c268, v59
	v_add_f32_e32 v2, v1, v2
	v_add_f32_e32 v122, v124, v122
	s_delay_alu instid0(VALU_DEP_4)
	v_fmamk_f32 v124, v19, 0xbf788fa5, v128
	v_fmamk_f32 v116, v19, 0x3f116cb1, v113
	v_fmamk_f32 v89, v7, 0x3f62ad3f, v110
	v_mul_f32_e32 v85, 0x3f52af12, v60
	v_fmamk_f32 v115, v9, 0xbf3f9e67, v112
	v_fma_f32 v131, 0xbf788fa5, v18, -v129
	v_mul_f32_e32 v130, 0x3eedf032, v66
	v_add_f32_e32 v2, v89, v2
	v_fma_f32 v89, 0xbf3f9e67, v8, -v87
	v_mul_f32_e32 v114, 0xbf6f5d39, v66
	v_mul_f32_e32 v64, 0xbf52af12, v64
	;; [unrolled: 1-line block ×3, first 2 shown]
	v_add_f32_e32 v2, v115, v2
	v_fma_f32 v115, 0x3f116cb1, v18, -v85
	v_add_f32_e32 v3, v89, v3
	v_mul_f32_e32 v89, 0xbf6f5d39, v61
	s_delay_alu instid0(VALU_DEP_4) | instskip(SKIP_1) | instid1(VALU_DEP_4)
	v_dual_fmamk_f32 v117, v21, 0xbeb58ec6, v114 :: v_dual_add_f32 v2, v116, v2
	v_mul_f32_e32 v116, 0x3f7e222b, v67
	v_add_f32_e32 v3, v115, v3
	s_delay_alu instid0(VALU_DEP_4) | instskip(SKIP_1) | instid1(VALU_DEP_4)
	v_fma_f32 v115, 0xbeb58ec6, v20, -v89
	v_mul_f32_e32 v62, 0xbeedf032, v62
	v_dual_add_f32 v2, v117, v2 :: v_dual_fmamk_f32 v117, v28, 0x3df6dbef, v116
	v_fmac_f32_e32 v118, 0x3df6dbef, v23
	s_delay_alu instid0(VALU_DEP_4) | instskip(SKIP_1) | instid1(VALU_DEP_4)
	v_dual_add_f32 v115, v115, v3 :: v_dual_add_f32 v52, v1, v52
	v_fmac_f32_e32 v89, 0xbeb58ec6, v20
	v_add_f32_e32 v3, v117, v2
	v_fma_f32 v2, 0xbf3f9e67, v4, -v120
	v_mul_f32_e32 v117, 0x3f7e222b, v31
	v_dual_mul_f32 v133, 0x3f62ad3f, v9 :: v_dual_add_f32 v50, v52, v50
	v_add_f32_e32 v52, v0, v58
	s_delay_alu instid0(VALU_DEP_4) | instskip(NEXT) | instid1(VALU_DEP_4)
	v_add_f32_e32 v2, v0, v2
	v_fma_f32 v126, 0x3df6dbef, v6, -v117
	s_delay_alu instid0(VALU_DEP_4)
	v_add_f32_e32 v108, v108, v133
	v_fmac_f32_e32 v88, 0x3f62ad3f, v6
	v_mul_f32_e32 v66, 0xbf29c268, v66
	v_fmac_f32_e32 v120, 0xbf3f9e67, v4
	v_add_f32_e32 v2, v126, v2
	v_fma_f32 v126, 0x3f116cb1, v8, -v127
	v_mul_f32_e32 v65, 0xbf6f5d39, v65
	v_fmac_f32_e32 v85, 0x3f116cb1, v18
	v_fmac_f32_e32 v87, 0xbf3f9e67, v8
	s_delay_alu instid0(VALU_DEP_4) | instskip(SKIP_2) | instid1(VALU_DEP_3)
	v_dual_fmac_f32 v127, 0x3f116cb1, v8 :: v_dual_add_f32 v126, v126, v2
	v_dual_add_f32 v2, v121, v115 :: v_dual_mul_f32 v115, 0x3eedf032, v61
	v_dual_add_f32 v121, v124, v122 :: v_dual_fmamk_f32 v122, v21, 0x3f62ad3f, v130
	v_add_f32_e32 v124, v131, v126
	v_mul_f32_e32 v126, 0xbeb58ec6, v5
	s_delay_alu instid0(VALU_DEP_4) | instskip(NEXT) | instid1(VALU_DEP_4)
	v_fma_f32 v131, 0x3f62ad3f, v20, -v115
	v_dual_fmamk_f32 v58, v19, 0xbeb58ec6, v65 :: v_dual_add_f32 v121, v122, v121
	v_fmac_f32_e32 v129, 0xbf788fa5, v18
	s_delay_alu instid0(VALU_DEP_4) | instskip(NEXT) | instid1(VALU_DEP_4)
	v_dual_add_f32 v99, v99, v126 :: v_dual_mul_f32 v126, 0xbeb58ec6, v4
	v_add_f32_e32 v122, v131, v124
	v_fmac_f32_e32 v111, 0xbf788fa5, v4
	v_fmac_f32_e32 v117, 0x3df6dbef, v6
	s_delay_alu instid0(VALU_DEP_4) | instskip(SKIP_1) | instid1(VALU_DEP_2)
	v_add_f32_e32 v131, v1, v99
	v_dual_sub_f32 v97, v126, v97 :: v_dual_mul_f32 v126, 0x3f62ad3f, v8
	v_dual_fmac_f32 v115, 0x3f62ad3f, v20 :: v_dual_add_f32 v100, v100, v131
	s_delay_alu instid0(VALU_DEP_2) | instskip(NEXT) | instid1(VALU_DEP_1)
	v_dual_add_f32 v97, v0, v97 :: v_dual_mul_f32 v132, 0xbf6f5d39, v67
	v_dual_sub_f32 v105, v126, v105 :: v_dual_fmamk_f32 v124, v28, 0xbeb58ec6, v132
	s_delay_alu instid0(VALU_DEP_1) | instskip(SKIP_2) | instid1(VALU_DEP_2)
	v_add_f32_e32 v99, v124, v121
	v_mul_f32_e32 v121, 0xbf3f9e67, v6
	v_mul_f32_e32 v124, 0x3df6dbef, v19
	v_dual_sub_f32 v98, v121, v98 :: v_dual_mul_f32 v121, 0xbf6f5d39, v63
	s_delay_alu instid0(VALU_DEP_1) | instskip(SKIP_1) | instid1(VALU_DEP_2)
	v_add_f32_e32 v97, v98, v97
	v_mul_f32_e32 v98, 0xbf788fa5, v21
	v_add_f32_e32 v97, v105, v97
	v_mul_f32_e32 v105, 0x3df6dbef, v5
	v_add_f32_e32 v107, v107, v124
	v_fma_f32 v124, 0xbeb58ec6, v23, -v121
	s_delay_alu instid0(VALU_DEP_3) | instskip(SKIP_1) | instid1(VALU_DEP_1)
	v_dual_fmac_f32 v121, 0xbeb58ec6, v23 :: v_dual_add_f32 v94, v94, v105
	v_mul_f32_e32 v105, 0x3f116cb1, v28
	v_dual_add_f32 v100, v108, v100 :: v_dual_add_f32 v103, v103, v105
	s_delay_alu instid0(VALU_DEP_1) | instskip(SKIP_2) | instid1(VALU_DEP_2)
	v_add_f32_e32 v100, v107, v100
	v_dual_mul_f32 v107, 0xbf788fa5, v20 :: v_dual_add_f32 v106, v106, v98
	v_add_f32_e32 v98, v124, v122
	v_sub_f32_e32 v102, v107, v102
	v_mul_f32_e32 v108, 0x3df6dbef, v18
	s_delay_alu instid0(VALU_DEP_1) | instskip(NEXT) | instid1(VALU_DEP_1)
	v_sub_f32_e32 v104, v108, v104
	v_dual_add_f32 v97, v104, v97 :: v_dual_mul_f32 v104, 0xbf788fa5, v7
	s_delay_alu instid0(VALU_DEP_1) | instskip(SKIP_1) | instid1(VALU_DEP_1)
	v_dual_add_f32 v97, v102, v97 :: v_dual_add_f32 v96, v96, v104
	v_mul_f32_e32 v104, 0xbeb58ec6, v9
	v_add_f32_e32 v102, v95, v104
	v_mul_f32_e32 v104, 0x3df6dbef, v4
	s_delay_alu instid0(VALU_DEP_1) | instskip(NEXT) | instid1(VALU_DEP_1)
	v_dual_add_f32 v100, v106, v100 :: v_dual_sub_f32 v91, v104, v91
	v_dual_add_f32 v94, v1, v94 :: v_dual_add_f32 v95, v103, v100
	s_delay_alu instid0(VALU_DEP_2) | instskip(NEXT) | instid1(VALU_DEP_2)
	v_add_f32_e32 v91, v0, v91
	v_add_f32_e32 v96, v96, v94
	s_delay_alu instid0(VALU_DEP_1) | instskip(SKIP_1) | instid1(VALU_DEP_1)
	v_add_f32_e32 v96, v102, v96
	v_mul_f32_e32 v102, 0x3f116cb1, v5
	v_add_f32_e32 v82, v82, v102
	v_mul_f32_e32 v102, 0xbf3f9e67, v28
	s_delay_alu instid0(VALU_DEP_2) | instskip(SKIP_1) | instid1(VALU_DEP_3)
	v_add_f32_e32 v82, v1, v82
	v_mul_f32_e32 v100, 0x3f62ad3f, v19
	v_add_f32_e32 v84, v84, v102
	s_delay_alu instid0(VALU_DEP_2) | instskip(SKIP_1) | instid1(VALU_DEP_2)
	v_dual_mul_f32 v102, 0x3df6dbef, v21 :: v_dual_add_f32 v93, v93, v100
	v_mul_f32_e32 v106, 0x3f116cb1, v23
	v_dual_mul_f32 v100, 0x3f116cb1, v21 :: v_dual_add_f32 v73, v73, v102
	s_delay_alu instid0(VALU_DEP_3) | instskip(NEXT) | instid1(VALU_DEP_2)
	v_add_f32_e32 v93, v93, v96
	v_dual_sub_f32 v101, v106, v101 :: v_dual_add_f32 v92, v92, v100
	s_delay_alu instid0(VALU_DEP_1) | instskip(NEXT) | instid1(VALU_DEP_1)
	v_dual_add_f32 v94, v101, v97 :: v_dual_mul_f32 v101, 0xbf788fa5, v6
	v_dual_mul_f32 v97, 0x3f116cb1, v4 :: v_dual_sub_f32 v90, v101, v90
	v_mul_f32_e32 v101, 0xbeb58ec6, v8
	s_delay_alu instid0(VALU_DEP_2) | instskip(SKIP_2) | instid1(VALU_DEP_4)
	v_sub_f32_e32 v77, v97, v77
	v_mul_f32_e32 v97, 0x3f62ad3f, v28
	v_mul_f32_e32 v100, 0xbeb58ec6, v7
	v_dual_sub_f32 v86, v101, v86 :: v_dual_mul_f32 v101, 0xbf788fa5, v9
	s_delay_alu instid0(VALU_DEP_4) | instskip(NEXT) | instid1(VALU_DEP_3)
	v_dual_mul_f32 v96, 0xbeb58ec6, v6 :: v_dual_add_f32 v77, v0, v77
	v_add_f32_e32 v81, v81, v100
	s_delay_alu instid0(VALU_DEP_3) | instskip(SKIP_2) | instid1(VALU_DEP_4)
	v_add_f32_e32 v79, v79, v101
	v_dual_mul_f32 v101, 0xbf3f9e67, v23 :: v_dual_add_f32 v92, v92, v93
	v_mul_f32_e32 v93, 0x3f62ad3f, v18
	v_dual_add_f32 v81, v81, v82 :: v_dual_add_f32 v90, v90, v91
	s_delay_alu instid0(VALU_DEP_3) | instskip(NEXT) | instid1(VALU_DEP_3)
	v_dual_mul_f32 v91, 0xbf788fa5, v8 :: v_dual_sub_f32 v78, v101, v78
	v_sub_f32_e32 v83, v93, v83
	v_mul_f32_e32 v93, 0xbf3f9e67, v19
	s_delay_alu instid0(VALU_DEP_4) | instskip(NEXT) | instid1(VALU_DEP_4)
	v_add_f32_e32 v79, v79, v81
	v_sub_f32_e32 v74, v91, v74
	v_mul_f32_e32 v82, 0x3f62ad3f, v23
	s_delay_alu instid0(VALU_DEP_4) | instskip(NEXT) | instid1(VALU_DEP_1)
	v_add_f32_e32 v76, v76, v93
	v_add_f32_e32 v76, v76, v79
	s_delay_alu instid0(VALU_DEP_1) | instskip(NEXT) | instid1(VALU_DEP_1)
	v_dual_add_f32 v86, v86, v90 :: v_dual_add_f32 v73, v73, v76
	v_dual_add_f32 v83, v83, v86 :: v_dual_mul_f32 v86, 0x3f116cb1, v20
	s_delay_alu instid0(VALU_DEP_1) | instskip(SKIP_2) | instid1(VALU_DEP_2)
	v_sub_f32_e32 v80, v86, v80
	v_sub_f32_e32 v86, v96, v75
	v_mul_f32_e32 v90, 0xbf3f9e67, v18
	v_dual_add_f32 v80, v80, v83 :: v_dual_add_f32 v77, v86, v77
	s_delay_alu instid0(VALU_DEP_2) | instskip(NEXT) | instid1(VALU_DEP_2)
	v_sub_f32_e32 v72, v90, v72
	v_add_f32_e32 v77, v74, v77
	s_delay_alu instid0(VALU_DEP_3) | instskip(SKIP_1) | instid1(VALU_DEP_3)
	v_add_f32_e32 v74, v78, v80
	v_fmamk_f32 v78, v5, 0x3f62ad3f, v62
	v_add_f32_e32 v72, v72, v77
	s_delay_alu instid0(VALU_DEP_2) | instskip(SKIP_3) | instid1(VALU_DEP_2)
	v_add_f32_e32 v76, v1, v78
	v_mul_f32_e32 v78, 0xbf7e222b, v68
	v_add_f32_e32 v68, v71, v97
	v_dual_mul_f32 v100, 0x3df6dbef, v20 :: v_dual_sub_f32 v71, v82, v69
	v_add_f32_e32 v69, v68, v73
	s_delay_alu instid0(VALU_DEP_2) | instskip(NEXT) | instid1(VALU_DEP_1)
	v_sub_f32_e32 v70, v100, v70
	v_add_f32_e32 v70, v70, v72
	s_delay_alu instid0(VALU_DEP_1) | instskip(SKIP_3) | instid1(VALU_DEP_3)
	v_add_f32_e32 v68, v71, v70
	v_mul_f32_e32 v71, 0xbeedf032, v30
	v_add_f32_e32 v30, v50, v46
	v_add_f32_e32 v46, v52, v57
	v_fma_f32 v57, 0x3f62ad3f, v4, -v71
	s_delay_alu instid0(VALU_DEP_3) | instskip(NEXT) | instid1(VALU_DEP_3)
	v_dual_fmac_f32 v71, 0x3f62ad3f, v4 :: v_dual_add_f32 v30, v30, v45
	v_dual_add_f32 v45, v46, v56 :: v_dual_mul_f32 v46, 0xbf52af12, v31
	v_add_f32_e32 v75, v84, v92
	s_delay_alu instid0(VALU_DEP_3) | instskip(NEXT) | instid1(VALU_DEP_3)
	v_add_f32_e32 v30, v30, v44
	v_add_f32_e32 v44, v45, v55
	s_delay_alu instid0(VALU_DEP_4) | instskip(SKIP_2) | instid1(VALU_DEP_4)
	v_fma_f32 v45, 0x3f116cb1, v6, -v46
	v_mul_f32_e32 v55, 0xbe750f2a, v67
	v_fmac_f32_e32 v46, 0x3f116cb1, v6
	v_dual_add_f32 v30, v30, v43 :: v_dual_add_f32 v43, v44, v54
	v_fma_f32 v6, 0xbeb58ec6, v28, -v132
	v_fmamk_f32 v52, v21, 0xbf3f9e67, v66
	s_delay_alu instid0(VALU_DEP_3) | instskip(NEXT) | instid1(VALU_DEP_4)
	v_add_f32_e32 v30, v30, v42
	v_dual_add_f32 v42, v43, v53 :: v_dual_fmamk_f32 v43, v28, 0xbf788fa5, v55
	s_delay_alu instid0(VALU_DEP_2) | instskip(NEXT) | instid1(VALU_DEP_2)
	v_add_f32_e32 v30, v30, v41
	v_dual_add_f32 v41, v42, v51 :: v_dual_mul_f32 v42, 0xbf29c268, v61
	s_delay_alu instid0(VALU_DEP_2) | instskip(NEXT) | instid1(VALU_DEP_2)
	v_add_f32_e32 v30, v30, v40
	v_add_f32_e32 v40, v41, v49
	v_fma_f32 v41, 0xbf788fa5, v5, -v109
	s_delay_alu instid0(VALU_DEP_2) | instskip(NEXT) | instid1(VALU_DEP_2)
	v_dual_add_f32 v30, v30, v39 :: v_dual_add_f32 v39, v40, v48
	v_add_f32_e32 v40, v1, v41
	v_fma_f32 v41, 0x3f62ad3f, v7, -v110
	s_delay_alu instid0(VALU_DEP_3) | instskip(NEXT) | instid1(VALU_DEP_2)
	v_dual_add_f32 v38, v30, v38 :: v_dual_add_f32 v39, v39, v47
	v_dual_fmamk_f32 v77, v7, 0x3f116cb1, v64 :: v_dual_add_f32 v40, v41, v40
	v_fma_f32 v41, 0xbf3f9e67, v9, -v112
	s_delay_alu instid0(VALU_DEP_3) | instskip(NEXT) | instid1(VALU_DEP_4)
	v_add_f32_e32 v38, v38, v37
	v_add_f32_e32 v29, v39, v29
	s_delay_alu instid0(VALU_DEP_3) | instskip(SKIP_2) | instid1(VALU_DEP_4)
	v_add_f32_e32 v39, v41, v40
	v_fma_f32 v40, 0x3f116cb1, v19, -v113
	v_add_f32_e32 v41, v0, v111
	v_add_f32_e32 v37, v29, v22
	v_fma_f32 v22, 0xbf3f9e67, v5, -v119
	s_delay_alu instid0(VALU_DEP_4) | instskip(NEXT) | instid1(VALU_DEP_4)
	v_dual_add_f32 v72, v77, v76 :: v_dual_add_f32 v29, v40, v39
	v_add_f32_e32 v40, v88, v41
	v_fmamk_f32 v76, v9, 0x3df6dbef, v78
	s_delay_alu instid0(VALU_DEP_4) | instskip(SKIP_2) | instid1(VALU_DEP_4)
	v_add_f32_e32 v22, v1, v22
	v_fma_f32 v41, 0x3df6dbef, v7, -v123
	v_fma_f32 v39, 0xbeb58ec6, v21, -v114
	v_add_f32_e32 v70, v76, v72
	s_delay_alu instid0(VALU_DEP_3) | instskip(SKIP_1) | instid1(VALU_DEP_4)
	v_add_f32_e32 v22, v41, v22
	v_fma_f32 v41, 0x3f116cb1, v9, -v125
	v_add_f32_e32 v29, v39, v29
	v_fma_f32 v39, 0x3df6dbef, v28, -v116
	s_delay_alu instid0(VALU_DEP_3) | instskip(NEXT) | instid1(VALU_DEP_1)
	v_dual_add_f32 v22, v41, v22 :: v_dual_add_f32 v41, v0, v120
	v_dual_add_f32 v50, v58, v70 :: v_dual_add_f32 v41, v117, v41
	s_delay_alu instid0(VALU_DEP_1) | instskip(SKIP_2) | instid1(VALU_DEP_4)
	v_add_f32_e32 v31, v52, v50
	v_add_f32_e32 v50, v0, v57
	;; [unrolled: 1-line block ×4, first 2 shown]
	s_delay_alu instid0(VALU_DEP_4) | instskip(SKIP_4) | instid1(VALU_DEP_4)
	v_add_f32_e32 v31, v43, v31
	v_fma_f32 v5, 0x3f62ad3f, v5, -v62
	v_add_f32_e32 v44, v45, v50
	v_add_f32_e32 v0, v46, v0
	v_add_f32_e32 v4, v129, v4
	v_add_f32_e32 v1, v1, v5
	v_fma_f32 v5, 0x3f116cb1, v7, -v64
	s_delay_alu instid0(VALU_DEP_3) | instskip(NEXT) | instid1(VALU_DEP_2)
	v_dual_add_f32 v4, v115, v4 :: v_dual_and_b32 v7, 0xffff, v11
	v_add_f32_e32 v1, v5, v1
	v_fma_f32 v5, 0x3df6dbef, v9, -v78
	v_fma_f32 v9, 0xbf788fa5, v28, -v55
	s_delay_alu instid0(VALU_DEP_4) | instskip(NEXT) | instid1(VALU_DEP_3)
	v_mul_u32_u24_e32 v7, 0x138, v7
	v_add_f32_e32 v1, v5, v1
	v_fma_f32 v5, 0xbeb58ec6, v19, -v65
	s_delay_alu instid0(VALU_DEP_1) | instskip(SKIP_1) | instid1(VALU_DEP_2)
	v_dual_mul_f32 v52, 0xbf7e222b, v59 :: v_dual_add_f32 v1, v5, v1
	v_fma_f32 v5, 0xbf3f9e67, v21, -v66
	v_fma_f32 v45, 0x3df6dbef, v8, -v52
	v_fmac_f32_e32 v52, 0x3df6dbef, v8
	s_delay_alu instid0(VALU_DEP_3) | instskip(SKIP_1) | instid1(VALU_DEP_4)
	v_dual_add_f32 v5, v5, v1 :: v_dual_lshlrev_b32 v8, 3, v10
	v_mul_f32_e32 v50, 0xbf6f5d39, v60
	v_add_f32_e32 v44, v45, v44
	s_delay_alu instid0(VALU_DEP_4) | instskip(NEXT) | instid1(VALU_DEP_4)
	v_add_f32_e32 v0, v52, v0
	v_add3_u32 v7, 0, v7, v8
	v_add_f32_e32 v5, v9, v5
	v_fma_f32 v45, 0xbeb58ec6, v18, -v50
	s_delay_alu instid0(VALU_DEP_1) | instskip(SKIP_1) | instid1(VALU_DEP_2)
	v_dual_fmac_f32 v50, 0xbeb58ec6, v18 :: v_dual_add_f32 v43, v45, v44
	v_fma_f32 v44, 0xbf3f9e67, v20, -v42
	v_dual_mul_f32 v45, 0xbe750f2a, v63 :: v_dual_add_f32 v0, v50, v0
	s_delay_alu instid0(VALU_DEP_2) | instskip(NEXT) | instid1(VALU_DEP_2)
	v_dual_fmac_f32 v42, 0xbf3f9e67, v20 :: v_dual_add_f32 v43, v44, v43
	v_fma_f32 v44, 0xbf788fa5, v23, -v45
	s_delay_alu instid0(VALU_DEP_2) | instskip(SKIP_1) | instid1(VALU_DEP_3)
	v_dual_fmac_f32 v45, 0xbf788fa5, v23 :: v_dual_add_f32 v10, v42, v0
	v_add_f32_e32 v0, v121, v4
	v_dual_add_f32 v30, v44, v43 :: v_dual_add_f32 v43, v87, v40
	v_add_f32_e32 v40, v39, v29
	v_fma_f32 v39, 0xbf788fa5, v19, -v128
	v_add_f32_e32 v4, v45, v10
	s_delay_alu instid0(VALU_DEP_4) | instskip(SKIP_1) | instid1(VALU_DEP_2)
	v_add_f32_e32 v29, v85, v43
	v_fma_f32 v43, 0x3f62ad3f, v21, -v130
	v_dual_add_f32 v22, v39, v22 :: v_dual_add_f32 v29, v89, v29
	s_delay_alu instid0(VALU_DEP_1) | instskip(NEXT) | instid1(VALU_DEP_1)
	v_dual_add_f32 v22, v43, v22 :: v_dual_add_f32 v39, v118, v29
	v_add_f32_e32 v1, v6, v22
	ds_store_2addr_b64 v7, v[37:38], v[30:31] offset1:3
	ds_store_2addr_b64 v7, v[68:69], v[74:75] offset0:6 offset1:9
	ds_store_2addr_b64 v7, v[94:95], v[98:99] offset0:12 offset1:15
	;; [unrolled: 1-line block ×5, first 2 shown]
	ds_store_b64 v7, v[4:5] offset:288
.LBB0_21:
	s_wait_alu 0xfffe
	s_or_b32 exec_lo, exec_lo, s4
	v_lshl_add_u32 v28, v34, 3, 0
	v_lshl_add_u32 v29, v35, 3, 0
	global_wb scope:SCOPE_SE
	s_wait_dscnt 0x0
	s_barrier_signal -1
	s_barrier_wait -1
	v_add_nc_u32_e32 v0, 0xc00, v28
	v_add_nc_u32_e32 v4, 0x1400, v28
	;; [unrolled: 1-line block ×3, first 2 shown]
	global_inv scope:SCOPE_SE
	v_lshl_add_u32 v30, v36, 3, 0
	ds_load_2addr_b64 v[0:3], v0 offset0:45 offset1:162
	ds_load_2addr_b64 v[8:11], v4 offset0:23 offset1:218
	;; [unrolled: 1-line block ×3, first 2 shown]
	ds_load_b64 v[22:23], v28
	ds_load_b64 v[20:21], v29
	;; [unrolled: 1-line block ×3, first 2 shown]
	s_and_saveexec_b32 s1, s0
	s_cbranch_execz .LBB0_23
; %bb.22:
	ds_load_b64 v[12:13], v28 offset:2808
	ds_load_b64 v[16:17], v28 offset:6240
	;; [unrolled: 1-line block ×3, first 2 shown]
.LBB0_23:
	s_wait_alu 0xfffe
	s_or_b32 exec_lo, exec_lo, s1
	v_mul_lo_u16 v31, 0xa5, v32
	v_and_b32_e32 v32, 0xffff, v36
	v_and_b32_e32 v37, 0xff, v35
	s_delay_alu instid0(VALU_DEP_3) | instskip(NEXT) | instid1(VALU_DEP_3)
	v_lshrrev_b16 v31, 8, v31
	v_mul_u32_u24_e32 v32, 0xa41b, v32
	s_delay_alu instid0(VALU_DEP_3) | instskip(NEXT) | instid1(VALU_DEP_3)
	v_mul_lo_u16 v37, 0xa5, v37
	v_sub_nc_u16 v38, v34, v31
	s_delay_alu instid0(VALU_DEP_3) | instskip(NEXT) | instid1(VALU_DEP_3)
	v_lshrrev_b32_e32 v32, 16, v32
	v_lshrrev_b16 v37, 8, v37
	s_delay_alu instid0(VALU_DEP_3) | instskip(NEXT) | instid1(VALU_DEP_3)
	v_lshrrev_b16 v38, 1, v38
	v_sub_nc_u16 v39, v36, v32
	s_delay_alu instid0(VALU_DEP_3) | instskip(NEXT) | instid1(VALU_DEP_3)
	v_sub_nc_u16 v40, v35, v37
	v_and_b32_e32 v38, 0x7f, v38
	s_delay_alu instid0(VALU_DEP_3) | instskip(NEXT) | instid1(VALU_DEP_2)
	v_lshrrev_b16 v39, 1, v39
	v_add_nc_u16 v31, v38, v31
	s_delay_alu instid0(VALU_DEP_4) | instskip(NEXT) | instid1(VALU_DEP_3)
	v_lshrrev_b16 v38, 1, v40
	v_add_nc_u16 v32, v39, v32
	s_delay_alu instid0(VALU_DEP_3) | instskip(NEXT) | instid1(VALU_DEP_3)
	v_lshrrev_b16 v31, 5, v31
	v_and_b32_e32 v38, 0x7f, v38
	s_delay_alu instid0(VALU_DEP_3) | instskip(NEXT) | instid1(VALU_DEP_3)
	v_lshrrev_b16 v32, 5, v32
	v_and_b32_e32 v31, 7, v31
	s_delay_alu instid0(VALU_DEP_3) | instskip(NEXT) | instid1(VALU_DEP_3)
	v_add_nc_u16 v37, v38, v37
	v_mul_lo_u16 v39, v32, 39
	s_delay_alu instid0(VALU_DEP_3) | instskip(NEXT) | instid1(VALU_DEP_3)
	v_mul_lo_u16 v38, v31, 39
	v_lshrrev_b16 v37, 5, v37
	s_delay_alu instid0(VALU_DEP_3) | instskip(NEXT) | instid1(VALU_DEP_3)
	v_sub_nc_u16 v36, v36, v39
	v_sub_nc_u16 v38, v34, v38
	s_delay_alu instid0(VALU_DEP_3) | instskip(NEXT) | instid1(VALU_DEP_3)
	v_and_b32_e32 v49, 7, v37
	v_and_b32_e32 v48, 0xffff, v36
	s_delay_alu instid0(VALU_DEP_3) | instskip(NEXT) | instid1(VALU_DEP_3)
	v_and_b32_e32 v50, 0xff, v38
	v_mul_lo_u16 v40, v49, 39
	s_delay_alu instid0(VALU_DEP_3) | instskip(SKIP_1) | instid1(VALU_DEP_3)
	v_lshlrev_b32_e32 v36, 4, v48
	v_and_b32_e32 v49, 0xffff, v49
	v_sub_nc_u16 v35, v35, v40
	global_load_b128 v[36:39], v36, s[8:9] offset:288
	v_mul_u32_u24_e32 v49, 0x3a8, v49
	v_and_b32_e32 v35, 0xff, v35
	s_delay_alu instid0(VALU_DEP_1)
	v_lshlrev_b32_e32 v44, 4, v35
	v_lshlrev_b32_e32 v35, 3, v35
	global_load_b128 v[44:47], v44, s[8:9] offset:288
	v_lshlrev_b32_e32 v41, 4, v50
	v_add3_u32 v35, 0, v49, v35
	global_load_b128 v[40:43], v41, s[8:9] offset:288
	global_wb scope:SCOPE_SE
	s_wait_loadcnt_dscnt 0x0
	s_barrier_signal -1
	s_barrier_wait -1
	global_inv scope:SCOPE_SE
	v_mul_f32_e32 v49, v39, v7
	v_dual_mul_f32 v39, v39, v6 :: v_dual_and_b32 v32, 0xffff, v32
	v_lshlrev_b32_e32 v48, 3, v48
	s_delay_alu instid0(VALU_DEP_3) | instskip(NEXT) | instid1(VALU_DEP_3)
	v_fma_f32 v6, v38, v6, -v49
	v_fmac_f32_e32 v39, v38, v7
	s_delay_alu instid0(VALU_DEP_4) | instskip(NEXT) | instid1(VALU_DEP_1)
	v_mul_u32_u24_e32 v32, 0x3a8, v32
	v_add3_u32 v32, 0, v32, v48
	v_mul_f32_e32 v48, v37, v9
	v_mul_f32_e32 v37, v37, v8
	s_delay_alu instid0(VALU_DEP_2) | instskip(NEXT) | instid1(VALU_DEP_2)
	v_fma_f32 v8, v36, v8, -v48
	v_fmac_f32_e32 v37, v36, v9
	v_and_b32_e32 v31, 0xffff, v31
	v_mul_f32_e32 v51, v43, v11
	v_mul_f32_e32 v43, v43, v10
	v_lshlrev_b32_e32 v50, 3, v50
	v_add_f32_e32 v36, v18, v8
	v_add_f32_e32 v38, v8, v6
	v_fma_f32 v7, v42, v10, -v51
	v_dual_fmac_f32 v43, v42, v11 :: v_dual_add_f32 v42, v19, v37
	v_mul_u32_u24_e32 v31, 0x3a8, v31
	v_dual_mul_f32 v10, v47, v5 :: v_dual_mul_f32 v9, v45, v2
	v_fma_f32 v18, -0.5, v38, v18
	s_delay_alu instid0(VALU_DEP_3) | instskip(SKIP_3) | instid1(VALU_DEP_3)
	v_add3_u32 v31, 0, v31, v50
	v_mul_f32_e32 v50, v41, v1
	v_mul_f32_e32 v41, v41, v0
	v_fma_f32 v10, v46, v4, -v10
	v_fma_f32 v0, v40, v0, -v50
	s_delay_alu instid0(VALU_DEP_3) | instskip(SKIP_3) | instid1(VALU_DEP_4)
	v_fmac_f32_e32 v41, v40, v1
	v_mul_f32_e32 v1, v45, v3
	v_mul_f32_e32 v11, v47, v4
	v_dual_sub_f32 v45, v8, v6 :: v_dual_sub_f32 v40, v37, v39
	v_add_f32_e32 v4, v23, v41
	s_delay_alu instid0(VALU_DEP_4) | instskip(SKIP_1) | instid1(VALU_DEP_2)
	v_fma_f32 v8, v44, v2, -v1
	v_dual_add_f32 v2, v22, v0 :: v_dual_add_f32 v37, v37, v39
	v_dual_add_f32 v1, v42, v39 :: v_dual_sub_f32 v42, v8, v10
	s_delay_alu instid0(VALU_DEP_2)
	v_add_f32_e32 v2, v2, v7
	v_fmac_f32_e32 v9, v44, v3
	v_sub_f32_e32 v44, v41, v43
	v_add_f32_e32 v3, v0, v7
	v_fmac_f32_e32 v11, v46, v5
	v_add_f32_e32 v5, v41, v43
	v_sub_f32_e32 v41, v0, v7
	v_add_f32_e32 v0, v36, v6
	v_fma_f32 v22, -0.5, v3, v22
	v_fmac_f32_e32 v19, -0.5, v37
	v_add_f32_e32 v37, v8, v10
	v_dual_add_f32 v36, v20, v8 :: v_dual_fmac_f32 v23, -0.5, v5
	s_delay_alu instid0(VALU_DEP_4) | instskip(SKIP_1) | instid1(VALU_DEP_4)
	v_fmamk_f32 v6, v44, 0x3f5db3d7, v22
	v_fmac_f32_e32 v22, 0xbf5db3d7, v44
	v_fma_f32 v20, -0.5, v37, v20
	s_delay_alu instid0(VALU_DEP_4)
	v_add_f32_e32 v8, v36, v10
	v_add_f32_e32 v3, v4, v43
	v_fmamk_f32 v4, v40, 0x3f5db3d7, v18
	v_fmac_f32_e32 v18, 0xbf5db3d7, v40
	v_sub_f32_e32 v38, v9, v11
	v_add_f32_e32 v39, v21, v9
	v_add_f32_e32 v9, v9, v11
	v_fmamk_f32 v5, v45, 0xbf5db3d7, v19
	s_delay_alu instid0(VALU_DEP_4) | instskip(NEXT) | instid1(VALU_DEP_3)
	v_dual_fmac_f32 v19, 0x3f5db3d7, v45 :: v_dual_fmamk_f32 v10, v38, 0x3f5db3d7, v20
	v_dual_fmac_f32 v20, 0xbf5db3d7, v38 :: v_dual_fmac_f32 v21, -0.5, v9
	v_fmamk_f32 v7, v41, 0xbf5db3d7, v23
	v_fmac_f32_e32 v23, 0x3f5db3d7, v41
	v_add_f32_e32 v9, v39, v11
	s_delay_alu instid0(VALU_DEP_4)
	v_fmamk_f32 v11, v42, 0xbf5db3d7, v21
	v_fmac_f32_e32 v21, 0x3f5db3d7, v42
	ds_store_2addr_b64 v31, v[2:3], v[6:7] offset1:39
	ds_store_b64 v31, v[22:23] offset:624
	ds_store_2addr_b64 v35, v[8:9], v[10:11] offset1:39
	ds_store_b64 v35, v[20:21] offset:624
	;; [unrolled: 2-line block ×3, first 2 shown]
	s_and_saveexec_b32 s1, s0
	s_cbranch_execz .LBB0_25
; %bb.24:
	v_add_nc_u32_e32 v0, 0x15f, v34
	s_delay_alu instid0(VALU_DEP_1) | instskip(NEXT) | instid1(VALU_DEP_1)
	v_and_b32_e32 v1, 0xffff, v0
	v_mul_u32_u24_e32 v1, 0xa41b, v1
	s_delay_alu instid0(VALU_DEP_1) | instskip(NEXT) | instid1(VALU_DEP_1)
	v_lshrrev_b32_e32 v1, 16, v1
	v_sub_nc_u16 v2, v0, v1
	s_delay_alu instid0(VALU_DEP_1) | instskip(NEXT) | instid1(VALU_DEP_1)
	v_lshrrev_b16 v2, 1, v2
	v_add_nc_u16 v1, v2, v1
	s_delay_alu instid0(VALU_DEP_1) | instskip(NEXT) | instid1(VALU_DEP_1)
	v_lshrrev_b16 v4, 5, v1
	v_mul_lo_u16 v1, v4, 39
	v_mul_lo_u16 v4, 0x75, v4
	s_delay_alu instid0(VALU_DEP_2) | instskip(NEXT) | instid1(VALU_DEP_1)
	v_sub_nc_u16 v0, v0, v1
	v_and_b32_e32 v5, 0xffff, v0
	s_delay_alu instid0(VALU_DEP_1)
	v_lshlrev_b32_e32 v0, 4, v5
	global_load_b128 v[0:3], v0, s[8:9] offset:288
	s_wait_loadcnt 0x0
	v_mul_f32_e32 v6, v17, v1
	v_mul_f32_e32 v7, v16, v1
	;; [unrolled: 1-line block ×3, first 2 shown]
	v_dual_mul_f32 v8, v14, v3 :: v_dual_lshlrev_b32 v3, 3, v5
	s_delay_alu instid0(VALU_DEP_4) | instskip(NEXT) | instid1(VALU_DEP_2)
	v_fma_f32 v5, v16, v0, -v6
	v_dual_fmac_f32 v7, v17, v0 :: v_dual_fmac_f32 v8, v15, v2
	s_delay_alu instid0(VALU_DEP_4) | instskip(NEXT) | instid1(VALU_DEP_2)
	v_fma_f32 v2, v14, v2, -v1
	v_dual_add_f32 v9, v13, v7 :: v_dual_and_b32 v4, 0xffff, v4
	s_delay_alu instid0(VALU_DEP_3) | instskip(SKIP_1) | instid1(VALU_DEP_3)
	v_add_f32_e32 v0, v7, v8
	v_sub_f32_e32 v7, v7, v8
	v_lshlrev_b32_e32 v4, 3, v4
	s_delay_alu instid0(VALU_DEP_1) | instskip(SKIP_3) | instid1(VALU_DEP_3)
	v_add3_u32 v6, 0, v3, v4
	v_add_f32_e32 v3, v5, v2
	v_dual_sub_f32 v4, v5, v2 :: v_dual_add_f32 v5, v12, v5
	v_fma_f32 v1, -0.5, v0, v13
	v_fma_f32 v0, -0.5, v3, v12
	v_add_f32_e32 v3, v9, v8
	s_delay_alu instid0(VALU_DEP_3) | instskip(NEXT) | instid1(VALU_DEP_3)
	v_dual_add_f32 v2, v5, v2 :: v_dual_fmamk_f32 v5, v4, 0x3f5db3d7, v1
	v_dual_fmac_f32 v1, 0xbf5db3d7, v4 :: v_dual_fmamk_f32 v4, v7, 0xbf5db3d7, v0
	v_fmac_f32_e32 v0, 0x3f5db3d7, v7
	ds_store_2addr_b64 v6, v[2:3], v[0:1] offset1:39
	ds_store_b64 v6, v[4:5] offset:624
.LBB0_25:
	s_wait_alu 0xfffe
	s_or_b32 exec_lo, exec_lo, s1
	global_wb scope:SCOPE_SE
	s_wait_dscnt 0x0
	s_barrier_signal -1
	s_barrier_wait -1
	global_inv scope:SCOPE_SE
	s_and_saveexec_b32 s0, vcc_lo
	s_cbranch_execz .LBB0_27
; %bb.26:
	v_mul_u32_u24_e32 v0, 10, v34
	v_add_nc_u32_e32 v58, 0xea, v33
	v_mad_co_u64_u32 v[46:47], null, s16, v33, 0
	v_mul_lo_u32 v34, s3, v26
	v_mul_lo_u32 v35, s2, v27
	s_delay_alu instid0(VALU_DEP_4)
	v_mad_co_u64_u32 v[52:53], null, s16, v58, 0
	v_lshlrev_b32_e32 v0, 3, v0
	v_mad_co_u64_u32 v[31:32], null, s2, v26, 0
	s_clause 0x4
	global_load_b128 v[2:5], v0, s[8:9] offset:976
	global_load_b128 v[6:9], v0, s[8:9] offset:912
	;; [unrolled: 1-line block ×5, first 2 shown]
	ds_load_b64 v[42:43], v30
	ds_load_b64 v[44:45], v29
	;; [unrolled: 1-line block ×3, first 2 shown]
	v_dual_mov_b32 v30, v47 :: v_dual_add_nc_u32 v57, 0x75, v33
	v_add3_u32 v32, v32, v35, v34
	v_add_nc_u32_e32 v26, 0x1800, v28
	v_add_nc_u32_e32 v36, 0x800, v28
	s_delay_alu instid0(VALU_DEP_4)
	v_mad_co_u64_u32 v[50:51], null, s16, v57, 0
	v_mad_co_u64_u32 v[54:55], null, s17, v33, v[30:31]
	v_lshlrev_b64_e32 v[30:31], 3, v[31:32]
	v_add_nc_u32_e32 v22, 0x2000, v28
	v_add_nc_u32_e32 v59, 0x15f, v33
	;; [unrolled: 1-line block ×3, first 2 shown]
	v_dual_mov_b32 v32, v51 :: v_dual_mov_b32 v51, v53
	v_mov_b32_e32 v47, v54
	v_add_co_u32 v53, vcc_lo, s6, v30
	s_wait_alu 0xfffd
	v_add_co_ci_u32_e32 v54, vcc_lo, s7, v31, vcc_lo
	s_delay_alu instid0(VALU_DEP_3) | instskip(SKIP_3) | instid1(VALU_DEP_2)
	v_lshlrev_b64_e32 v[30:31], 3, v[46:47]
	v_mad_co_u64_u32 v[46:47], null, s17, v57, v[32:33]
	v_lshlrev_b64_e32 v[48:49], 3, v[24:25]
	v_mad_co_u64_u32 v[55:56], null, s16, v59, 0
	v_add_co_u32 v48, vcc_lo, v53, v48
	s_wait_alu 0xfffd
	s_delay_alu instid0(VALU_DEP_3) | instskip(NEXT) | instid1(VALU_DEP_2)
	v_add_co_ci_u32_e32 v49, vcc_lo, v54, v49, vcc_lo
	v_add_co_u32 v30, vcc_lo, v48, v30
	s_wait_alu 0xfffd
	s_delay_alu instid0(VALU_DEP_2)
	v_add_co_ci_u32_e32 v31, vcc_lo, v49, v31, vcc_lo
	s_wait_loadcnt_dscnt 0x301
	v_mul_f32_e32 v47, v6, v45
	ds_load_2addr_b64 v[22:25], v22 offset0:29 offset1:146
	ds_load_2addr_b64 v[26:29], v26 offset0:51 offset1:168
	v_dual_mul_f32 v45, v7, v45 :: v_dual_mul_f32 v54, v8, v43
	s_wait_dscnt 0x1
	v_dual_mul_f32 v43, v9, v43 :: v_dual_mul_f32 v32, v4, v25
	v_mul_f32_e32 v25, v5, v25
	ds_load_2addr_b64 v[34:37], v36 offset0:95 offset1:212
	ds_load_2addr_b64 v[38:41], v38 offset0:73 offset1:190
	v_mul_f32_e32 v53, v2, v23
	v_mul_f32_e32 v23, v3, v23
	s_wait_loadcnt_dscnt 0x202
	v_mul_f32_e32 v57, v12, v29
	v_mul_f32_e32 v29, v13, v29
	v_dual_mul_f32 v61, v10, v27 :: v_dual_fmac_f32 v54, v9, v42
	v_fmac_f32_e32 v32, v5, v24
	v_fma_f32 v5, v6, v44, -v45
	v_fma_f32 v24, v24, v4, -v25
	;; [unrolled: 1-line block ×3, first 2 shown]
	s_wait_loadcnt_dscnt 0x101
	v_mul_f32_e32 v62, v16, v37
	s_wait_loadcnt_dscnt 0x0
	v_dual_mul_f32 v37, v17, v37 :: v_dual_mul_f32 v64, v18, v39
	v_mul_f32_e32 v27, v11, v27
	v_mul_f32_e32 v60, v14, v35
	v_dual_fmac_f32 v62, v17, v36 :: v_dual_mul_f32 v35, v15, v35
	v_mul_f32_e32 v63, v20, v41
	v_fma_f32 v4, v16, v36, -v37
	s_delay_alu instid0(VALU_DEP_4)
	v_fmac_f32_e32 v60, v15, v34
	v_fma_f32 v6, v26, v10, -v27
	v_fmac_f32_e32 v61, v11, v26
	v_dual_mul_f32 v41, v21, v41 :: v_dual_fmac_f32 v64, v19, v38
	v_fmac_f32_e32 v57, v13, v28
	v_fmac_f32_e32 v53, v3, v22
	v_fma_f32 v22, v22, v2, -v23
	v_fma_f32 v2, v14, v34, -v35
	v_fmac_f32_e32 v63, v21, v40
	v_add_f32_e32 v28, v6, v4
	v_dual_fmac_f32 v47, v7, v44 :: v_dual_add_f32 v16, v61, v62
	v_sub_f32_e32 v17, v4, v6
	v_dual_mul_f32 v39, v19, v39 :: v_dual_sub_f32 v10, v5, v24
	v_fma_f32 v3, v8, v42, -v43
	v_fma_f32 v8, v40, v20, -v41
	v_add_f32_e32 v20, v24, v5
	v_add_f32_e32 v26, v12, v2
	v_dual_mul_f32 v40, 0x3ed4b147, v16 :: v_dual_sub_f32 v35, v64, v63
	v_mul_f32_e32 v68, 0xbe903f40, v17
	v_sub_f32_e32 v27, v60, v57
	v_fma_f32 v7, v18, v38, -v39
	v_add_f32_e32 v14, v57, v60
	v_dual_mul_f32 v74, 0x3f68dda4, v35 :: v_dual_add_f32 v11, v53, v54
	s_delay_alu instid0(VALU_DEP_4)
	v_dual_sub_f32 v21, v47, v32 :: v_dual_mul_f32 v44, 0xbf4178ce, v27
	v_add_f32_e32 v5, v5, v0
	v_dual_add_f32 v9, v32, v47 :: v_dual_add_f32 v18, v63, v64
	v_dual_sub_f32 v15, v2, v12 :: v_dual_add_f32 v36, v47, v1
	v_dual_sub_f32 v25, v54, v53 :: v_dual_mul_f32 v72, 0xbf0a6770, v27
	v_dual_sub_f32 v29, v62, v61 :: v_dual_mul_f32 v82, 0x3f68dda4, v27
	v_dual_add_f32 v34, v8, v7 :: v_dual_sub_f32 v13, v3, v22
	v_mul_f32_e32 v38, 0x3f575c64, v11
	v_dual_add_f32 v23, v22, v3 :: v_dual_mul_f32 v70, 0xbf4178ce, v21
	v_dual_mul_f32 v88, 0x3f7d64f0, v17 :: v_dual_add_f32 v3, v5, v3
	v_dual_sub_f32 v19, v7, v8 :: v_dual_mul_f32 v42, 0xbe903f40, v21
	v_dual_mul_f32 v37, 0xbf75a155, v9 :: v_dual_add_f32 v36, v36, v54
	v_dual_mul_f32 v43, 0x3f0a6770, v25 :: v_dual_mul_f32 v94, 0x3f0a6770, v35
	s_delay_alu instid0(VALU_DEP_4) | instskip(SKIP_1) | instid1(VALU_DEP_4)
	v_dual_mul_f32 v73, 0xbe903f40, v29 :: v_dual_add_f32 v2, v3, v2
	v_dual_mul_f32 v85, 0xbf68dda4, v10 :: v_dual_mul_f32 v90, 0xbf68dda4, v21
	v_dual_mul_f32 v45, 0x3f68dda4, v29 :: v_dual_add_f32 v36, v36, v60
	v_dual_mul_f32 v47, 0xbf7d64f0, v35 :: v_dual_mul_f32 v80, 0xbf7d64f0, v21
	v_dual_mul_f32 v65, 0xbf4178ce, v10 :: v_dual_mul_f32 v84, 0xbf4178ce, v35
	v_mul_f32_e32 v66, 0x3f7d64f0, v13
	v_dual_mul_f32 v76, 0x3e903f40, v13 :: v_dual_mul_f32 v87, 0x3e903f40, v15
	v_dual_mul_f32 v79, 0xbf4178ce, v19 :: v_dual_mul_f32 v86, 0xbf4178ce, v13
	v_dual_mul_f32 v83, 0xbf0a6770, v29 :: v_dual_fmamk_f32 v54, v13, 0xbf0a6770, v38
	v_dual_mul_f32 v89, 0x3f0a6770, v19 :: v_dual_fmac_f32 v38, 0x3f0a6770, v13
	v_dual_mul_f32 v93, 0x3f7d64f0, v29 :: v_dual_add_f32 v36, v36, v62
	v_mul_f32_e32 v95, 0xbf0a6770, v10
	v_dual_mul_f32 v96, 0xbf68dda4, v13 :: v_dual_fmamk_f32 v101, v17, 0xbf68dda4, v40
	v_dual_mul_f32 v21, 0xbf0a6770, v21 :: v_dual_add_f32 v2, v2, v4
	v_fmamk_f32 v5, v10, 0x3e903f40, v37
	v_fma_f32 v13, 0x3f575c64, v23, -v43
	v_fmac_f32_e32 v37, 0xbe903f40, v10
	v_fma_f32 v120, 0x3ed4b147, v26, -v82
	v_dual_fmamk_f32 v123, v9, 0x3ed4b147, v85 :: v_dual_fmac_f32 v82, 0x3ed4b147, v26
	v_mul_f32_e32 v99, 0xbe903f40, v19
	v_fmamk_f32 v103, v20, 0xbf75a155, v42
	v_mul_f32_e32 v75, 0xbf7d64f0, v10
	v_fma_f32 v10, 0xbf75a155, v20, -v42
	v_dual_mul_f32 v39, 0xbf27a4f4, v14 :: v_dual_fmamk_f32 v42, v9, 0xbf27a4f4, v65
	v_mul_f32_e32 v77, 0x3f68dda4, v15
	v_dual_mul_f32 v81, 0x3e903f40, v25 :: v_dual_mul_f32 v92, 0x3e903f40, v27
	v_dual_fmamk_f32 v113, v9, 0xbe11bafb, v75 :: v_dual_add_f32 v36, v36, v64
	v_fma_f32 v131, 0xbe11bafb, v28, -v93
	v_fma_f32 v3, 0xbf27a4f4, v9, -v65
	;; [unrolled: 1-line block ×3, first 2 shown]
	v_mul_f32_e32 v27, 0xbf7d64f0, v27
	v_fma_f32 v75, 0x3ed4b147, v9, -v85
	v_fma_f32 v85, 0x3f575c64, v20, -v21
	v_dual_fmac_f32 v93, 0xbe11bafb, v28 :: v_dual_add_f32 v2, v2, v7
	v_dual_add_f32 v10, v10, v0 :: v_dual_mul_f32 v67, 0xbf0a6770, v15
	v_mul_f32_e32 v78, 0xbf0a6770, v17
	v_mul_f32_e32 v97, 0xbf7d64f0, v15
	;; [unrolled: 1-line block ×3, first 2 shown]
	v_dual_fmamk_f32 v100, v15, 0x3f4178ce, v39 :: v_dual_add_f32 v5, v5, v1
	v_fmac_f32_e32 v39, 0xbf4178ce, v15
	v_fma_f32 v15, 0xbf27a4f4, v26, -v44
	v_fma_f32 v110, 0x3f575c64, v26, -v72
	;; [unrolled: 1-line block ×3, first 2 shown]
	v_dual_fmamk_f32 v114, v11, 0xbf75a155, v76 :: v_dual_fmamk_f32 v125, v14, 0xbf75a155, v87
	v_dual_fmamk_f32 v115, v14, 0x3ed4b147, v77 :: v_dual_fmamk_f32 v134, v11, 0x3ed4b147, v96
	;; [unrolled: 1-line block ×3, first 2 shown]
	v_fma_f32 v119, 0xbf75a155, v23, -v81
	v_fmamk_f32 v105, v26, 0xbf27a4f4, v44
	v_fma_f32 v130, 0xbf75a155, v26, -v92
	v_fma_f32 v76, 0xbf75a155, v11, -v76
	;; [unrolled: 1-line block ×3, first 2 shown]
	v_fmac_f32_e32 v72, 0x3f575c64, v26
	v_dual_fmac_f32 v73, 0xbf75a155, v28 :: v_dual_fmac_f32 v92, 0xbf75a155, v26
	v_dual_add_f32 v85, v85, v0 :: v_dual_add_f32 v2, v8, v2
	v_add_f32_e32 v62, v65, v1
	v_add_f32_e32 v10, v10, v13
	v_fmamk_f32 v104, v23, 0x3f575c64, v43
	v_fmamk_f32 v43, v11, 0xbe11bafb, v66
	v_fma_f32 v66, 0xbe11bafb, v11, -v66
	v_fma_f32 v11, 0x3ed4b147, v11, -v96
	;; [unrolled: 1-line block ×3, first 2 shown]
	v_dual_fmac_f32 v27, 0xbe11bafb, v26 :: v_dual_add_f32 v10, v10, v15
	v_dual_add_f32 v26, v42, v1 :: v_dual_fmamk_f32 v133, v9, 0x3f575c64, v95
	v_dual_mul_f32 v41, 0xbe11bafb, v18 :: v_dual_fmamk_f32 v126, v16, 0xbe11bafb, v88
	v_dual_mul_f32 v69, 0x3f68dda4, v19 :: v_dual_fmac_f32 v40, 0x3f68dda4, v17
	s_delay_alu instid0(VALU_DEP_2)
	v_dual_mul_f32 v71, 0x3f7d64f0, v25 :: v_dual_fmamk_f32 v102, v19, 0x3f7d64f0, v41
	v_mul_f32_e32 v35, 0xbe903f40, v35
	v_fmamk_f32 v107, v34, 0xbe11bafb, v47
	v_fma_f32 v108, 0xbf27a4f4, v20, -v70
	v_mul_f32_e32 v91, 0xbf4178ce, v25
	v_fma_f32 v118, 0xbe11bafb, v20, -v80
	v_fma_f32 v128, 0x3ed4b147, v20, -v90
	;; [unrolled: 1-line block ×3, first 2 shown]
	v_fmac_f32_e32 v80, 0xbe11bafb, v20
	v_fmac_f32_e32 v90, 0x3ed4b147, v20
	;; [unrolled: 1-line block ×5, first 2 shown]
	v_mul_f32_e32 v29, 0xbf4178ce, v29
	v_add_f32_e32 v42, v123, v1
	v_fmamk_f32 v136, v18, 0xbf75a155, v99
	v_dual_add_f32 v20, v103, v0 :: v_dual_add_f32 v103, v133, v1
	v_dual_mul_f32 v25, 0xbf68dda4, v25 :: v_dual_add_f32 v4, v70, v0
	v_fmamk_f32 v106, v28, 0x3ed4b147, v45
	v_fmac_f32_e32 v41, 0xbf7d64f0, v19
	v_fma_f32 v17, 0x3ed4b147, v28, -v45
	v_fma_f32 v19, 0xbe11bafb, v34, -v47
	v_fmamk_f32 v44, v14, 0x3f575c64, v67
	v_fmamk_f32 v47, v18, 0x3ed4b147, v69
	v_fma_f32 v109, 0xbe11bafb, v23, -v71
	v_fma_f32 v112, 0x3ed4b147, v34, -v74
	v_fmac_f32_e32 v74, 0x3ed4b147, v34
	v_dual_fmamk_f32 v116, v16, 0x3f575c64, v78 :: v_dual_fmamk_f32 v127, v18, 0x3f575c64, v89
	v_fma_f32 v121, 0x3f575c64, v28, -v83
	v_fma_f32 v122, 0xbf27a4f4, v34, -v84
	v_fmamk_f32 v60, v16, 0xbf27a4f4, v98
	v_fma_f32 v9, 0x3f575c64, v9, -v95
	v_fma_f32 v95, 0x3ed4b147, v23, -v25
	;; [unrolled: 1-line block ×11, first 2 shown]
	v_fmac_f32_e32 v83, 0x3f575c64, v28
	v_fmac_f32_e32 v84, 0xbf27a4f4, v34
	;; [unrolled: 1-line block ×4, first 2 shown]
	v_add_f32_e32 v99, v128, v0
	v_fmamk_f32 v45, v16, 0xbf75a155, v68
	v_fma_f32 v68, 0xbf75a155, v16, -v68
	v_fma_f32 v16, 0xbf27a4f4, v16, -v98
	v_add_f32_e32 v65, v80, v0
	v_dual_fmac_f32 v71, 0xbe11bafb, v23 :: v_dual_add_f32 v70, v75, v1
	v_fma_f32 v98, 0xbf75a155, v34, -v35
	v_dual_fmac_f32 v35, 0xbf75a155, v34 :: v_dual_add_f32 v34, v113, v1
	v_fmamk_f32 v135, v14, 0xbe11bafb, v97
	v_fma_f32 v14, 0xbe11bafb, v14, -v97
	v_fma_f32 v97, 0xbf27a4f4, v28, -v29
	v_fmac_f32_e32 v29, 0xbf27a4f4, v28
	v_add_f32_e32 v28, v108, v0
	v_fma_f32 v129, 0xbf27a4f4, v23, -v91
	v_fmac_f32_e32 v91, 0xbf27a4f4, v23
	v_add_f32_e32 v75, v90, v0
	v_add_f32_e32 v23, v37, v1
	;; [unrolled: 1-line block ×3, first 2 shown]
	v_dual_add_f32 v5, v5, v54 :: v_dual_add_f32 v10, v10, v17
	s_delay_alu instid0(VALU_DEP_4) | instskip(SKIP_2) | instid1(VALU_DEP_2)
	v_add_f32_e32 v54, v75, v91
	v_dual_add_f32 v0, v21, v0 :: v_dual_add_f32 v21, v28, v109
	v_add_f32_e32 v28, v42, v124
	v_add_f32_e32 v0, v0, v25
	;; [unrolled: 1-line block ×3, first 2 shown]
	v_dual_add_f32 v4, v4, v71 :: v_dual_add_f32 v3, v3, v1
	v_add_f32_e32 v1, v9, v1
	v_dual_add_f32 v9, v20, v104 :: v_dual_add_f32 v20, v23, v38
	v_dual_add_f32 v23, v34, v114 :: v_dual_add_f32 v0, v0, v27
	v_add_f32_e32 v34, v99, v129
	v_add_f32_e32 v8, v42, v82
	;; [unrolled: 1-line block ×3, first 2 shown]
	v_dual_add_f32 v13, v26, v43 :: v_dual_add_f32 v4, v4, v72
	v_dual_add_f32 v26, v37, v119 :: v_dual_add_f32 v37, v103, v134
	v_add_f32_e32 v1, v1, v11
	v_dual_add_f32 v25, v34, v130 :: v_dual_add_f32 v34, v63, v36
	v_add_f32_e32 v11, v20, v39
	v_add_f32_e32 v39, v8, v83
	v_dual_add_f32 v15, v21, v110 :: v_dual_add_f32 v20, v23, v115
	v_dual_add_f32 v21, v26, v120 :: v_dual_add_f32 v26, v37, v135
	v_add_f32_e32 v1, v1, v14
	s_delay_alu instid0(VALU_DEP_3)
	v_dual_add_f32 v23, v28, v125 :: v_dual_add_f32 v14, v15, v111
	v_add_f32_e32 v9, v9, v105
	v_add_f32_e32 v7, v62, v76
	;; [unrolled: 1-line block ×4, first 2 shown]
	v_dual_add_f32 v15, v20, v116 :: v_dual_add_f32 v20, v23, v126
	v_dual_add_f32 v23, v26, v60 :: v_dual_add_f32 v26, v61, v34
	v_add_f32_e32 v34, v4, v73
	v_dual_add_f32 v4, v14, v112 :: v_dual_add_f32 v9, v9, v106
	v_add_f32_e32 v36, v43, v87
	v_add_f32_e32 v3, v3, v66
	v_add_f32_e32 v27, v6, v2
	v_add_f32_e32 v28, v38, v96
	v_add_f32_e32 v0, v9, v107
	v_dual_add_f32 v17, v21, v121 :: v_dual_add_f32 v36, v36, v88
	v_add_f32_e32 v3, v3, v67
	v_add_f32_e32 v37, v54, v92
	s_delay_alu instid0(VALU_DEP_3) | instskip(SKIP_4) | instid1(VALU_DEP_4)
	v_dual_add_f32 v11, v11, v40 :: v_dual_add_f32 v6, v17, v122
	v_add_f32_e32 v17, v12, v27
	v_add_f32_e32 v21, v25, v131
	v_dual_add_f32 v5, v5, v100 :: v_dual_add_f32 v2, v10, v19
	v_dual_add_f32 v13, v13, v44 :: v_dual_add_f32 v12, v34, v74
	v_add_f32_e32 v22, v22, v17
	v_add_f32_e32 v40, v1, v16
	v_dual_add_f32 v16, v57, v26 :: v_dual_add_f32 v25, v28, v97
	v_add_f32_e32 v9, v20, v127
	v_add_f32_e32 v5, v5, v101
	;; [unrolled: 1-line block ×3, first 2 shown]
	s_delay_alu instid0(VALU_DEP_4) | instskip(SKIP_3) | instid1(VALU_DEP_4)
	v_dual_add_f32 v20, v53, v16 :: v_dual_add_f32 v7, v7, v77
	v_dual_add_f32 v10, v25, v98 :: v_dual_mov_b32 v25, v56
	v_dual_add_f32 v28, v3, v68 :: v_dual_add_f32 v37, v37, v93
	v_add_f32_e32 v8, v21, v132
	v_add_f32_e32 v21, v32, v20
	s_delay_alu instid0(VALU_DEP_4)
	v_mad_co_u64_u32 v[25:26], null, s17, v59, v[25:26]
	v_add_f32_e32 v20, v24, v22
	v_add_f32_e32 v1, v5, v102
	;; [unrolled: 1-line block ×4, first 2 shown]
	v_add_nc_u32_e32 v28, 0x1d4, v33
	v_dual_add_f32 v16, v37, v94 :: v_dual_add_f32 v3, v11, v41
	v_dual_mov_b32 v56, v25 :: v_dual_add_f32 v11, v23, v136
	v_mad_co_u64_u32 v[22:23], null, s17, v58, v[51:52]
	s_delay_alu instid0(VALU_DEP_4)
	v_mad_co_u64_u32 v[23:24], null, s16, v28, 0
	v_mov_b32_e32 v51, v46
	global_store_b64 v[30:31], v[20:21], off
	v_add_nc_u32_e32 v31, 0x249, v33
	v_add_f32_e32 v19, v40, v18
	v_mov_b32_e32 v53, v22
	v_lshlrev_b64_e32 v[20:21], 3, v[50:51]
	v_mov_b32_e32 v22, v24
	v_add_f32_e32 v18, v29, v35
	v_add_f32_e32 v38, v7, v78
	v_lshlrev_b64_e32 v[26:27], 3, v[52:53]
	v_add_f32_e32 v7, v15, v117
	v_mad_co_u64_u32 v[28:29], null, s17, v28, v[22:23]
	v_mad_co_u64_u32 v[29:30], null, s16, v31, 0
	v_add_co_u32 v20, vcc_lo, v48, v20
	s_wait_alu 0xfffd
	v_add_co_ci_u32_e32 v21, vcc_lo, v49, v21, vcc_lo
	v_add_co_u32 v25, vcc_lo, v48, v26
	s_wait_alu 0xfffd
	v_add_co_ci_u32_e32 v26, vcc_lo, v49, v27, vcc_lo
	global_store_b64 v[20:21], v[10:11], off
	v_mov_b32_e32 v10, v30
	v_mov_b32_e32 v24, v28
	v_lshlrev_b64_e32 v[20:21], 3, v[55:56]
	global_store_b64 v[25:26], v[8:9], off
	v_add_nc_u32_e32 v22, 0x2be, v33
	v_mad_co_u64_u32 v[10:11], null, s17, v31, v[10:11]
	v_lshlrev_b64_e32 v[8:9], 3, v[23:24]
	v_add_co_u32 v20, vcc_lo, v48, v20
	s_wait_alu 0xfffd
	v_add_co_ci_u32_e32 v21, vcc_lo, v49, v21, vcc_lo
	s_delay_alu instid0(VALU_DEP_4)
	v_dual_mov_b32 v30, v10 :: v_dual_add_nc_u32 v23, 0x333, v33
	v_mad_co_u64_u32 v[10:11], null, s16, v22, 0
	v_add_co_u32 v8, vcc_lo, v48, v8
	s_wait_alu 0xfffd
	v_add_co_ci_u32_e32 v9, vcc_lo, v49, v9, vcc_lo
	global_store_b64 v[20:21], v[6:7], off
	v_add_nc_u32_e32 v25, 0x3a8, v33
	v_mad_co_u64_u32 v[6:7], null, s16, v23, 0
	global_store_b64 v[8:9], v[4:5], off
	v_mov_b32_e32 v8, v11
	v_mad_co_u64_u32 v[20:21], null, s16, v25, 0
	v_lshlrev_b64_e32 v[4:5], 3, v[29:30]
	v_add_nc_u32_e32 v27, 0x41d, v33
	s_delay_alu instid0(VALU_DEP_4) | instskip(SKIP_1) | instid1(VALU_DEP_4)
	v_mad_co_u64_u32 v[8:9], null, s17, v22, v[8:9]
	v_dual_add_f32 v15, v38, v79 :: v_dual_add_nc_u32 v28, 0x492, v33
	v_add_co_u32 v4, vcc_lo, v48, v4
	s_wait_alu 0xfffd
	v_add_co_ci_u32_e32 v5, vcc_lo, v49, v5, vcc_lo
	s_delay_alu instid0(VALU_DEP_4)
	v_mad_co_u64_u32 v[22:23], null, s17, v23, v[7:8]
	v_mov_b32_e32 v7, v21
	v_mad_co_u64_u32 v[23:24], null, s16, v27, 0
	v_mov_b32_e32 v11, v8
	global_store_b64 v[4:5], v[2:3], off
	v_mad_co_u64_u32 v[25:26], null, s17, v25, v[7:8]
	v_mad_co_u64_u32 v[8:9], null, s16, v28, 0
	v_mov_b32_e32 v2, v24
	v_lshlrev_b64_e32 v[3:4], 3, v[10:11]
	v_dual_mov_b32 v7, v22 :: v_dual_add_f32 v14, v39, v84
	v_mov_b32_e32 v21, v25
	v_add_f32_e32 v17, v36, v89
	s_delay_alu instid0(VALU_DEP_4)
	v_mad_co_u64_u32 v[10:11], null, s17, v27, v[2:3]
	v_mov_b32_e32 v2, v9
	v_add_co_u32 v3, vcc_lo, v48, v3
	v_lshlrev_b64_e32 v[5:6], 3, v[6:7]
	v_lshlrev_b64_e32 v[20:21], 3, v[20:21]
	s_wait_alu 0xfffd
	v_add_co_ci_u32_e32 v4, vcc_lo, v49, v4, vcc_lo
	v_mad_co_u64_u32 v[25:26], null, s17, v28, v[2:3]
	v_mov_b32_e32 v24, v10
	v_add_co_u32 v5, vcc_lo, v48, v5
	s_wait_alu 0xfffd
	v_add_co_ci_u32_e32 v6, vcc_lo, v49, v6, vcc_lo
	s_delay_alu instid0(VALU_DEP_3) | instskip(SKIP_4) | instid1(VALU_DEP_3)
	v_lshlrev_b64_e32 v[10:11], 3, v[23:24]
	v_mov_b32_e32 v9, v25
	v_add_co_u32 v20, vcc_lo, v48, v20
	s_wait_alu 0xfffd
	v_add_co_ci_u32_e32 v21, vcc_lo, v49, v21, vcc_lo
	v_lshlrev_b64_e32 v[7:8], 3, v[8:9]
	v_add_co_u32 v9, vcc_lo, v48, v10
	s_wait_alu 0xfffd
	v_add_co_ci_u32_e32 v10, vcc_lo, v49, v11, vcc_lo
	s_delay_alu instid0(VALU_DEP_3)
	v_add_co_u32 v7, vcc_lo, v48, v7
	s_wait_alu 0xfffd
	v_add_co_ci_u32_e32 v8, vcc_lo, v49, v8, vcc_lo
	s_clause 0x4
	global_store_b64 v[3:4], v[0:1], off
	global_store_b64 v[5:6], v[12:13], off
	;; [unrolled: 1-line block ×5, first 2 shown]
.LBB0_27:
	s_nop 0
	s_sendmsg sendmsg(MSG_DEALLOC_VGPRS)
	s_endpgm
	.section	.rodata,"a",@progbits
	.p2align	6, 0x0
	.amdhsa_kernel fft_rtc_fwd_len1287_factors_3_13_3_11_wgs_117_tpt_117_sp_op_CI_CI_sbrr_dirReg
		.amdhsa_group_segment_fixed_size 0
		.amdhsa_private_segment_fixed_size 0
		.amdhsa_kernarg_size 104
		.amdhsa_user_sgpr_count 2
		.amdhsa_user_sgpr_dispatch_ptr 0
		.amdhsa_user_sgpr_queue_ptr 0
		.amdhsa_user_sgpr_kernarg_segment_ptr 1
		.amdhsa_user_sgpr_dispatch_id 0
		.amdhsa_user_sgpr_private_segment_size 0
		.amdhsa_wavefront_size32 1
		.amdhsa_uses_dynamic_stack 0
		.amdhsa_enable_private_segment 0
		.amdhsa_system_sgpr_workgroup_id_x 1
		.amdhsa_system_sgpr_workgroup_id_y 0
		.amdhsa_system_sgpr_workgroup_id_z 0
		.amdhsa_system_sgpr_workgroup_info 0
		.amdhsa_system_vgpr_workitem_id 0
		.amdhsa_next_free_vgpr 137
		.amdhsa_next_free_sgpr 43
		.amdhsa_reserve_vcc 1
		.amdhsa_float_round_mode_32 0
		.amdhsa_float_round_mode_16_64 0
		.amdhsa_float_denorm_mode_32 3
		.amdhsa_float_denorm_mode_16_64 3
		.amdhsa_fp16_overflow 0
		.amdhsa_workgroup_processor_mode 1
		.amdhsa_memory_ordered 1
		.amdhsa_forward_progress 0
		.amdhsa_round_robin_scheduling 0
		.amdhsa_exception_fp_ieee_invalid_op 0
		.amdhsa_exception_fp_denorm_src 0
		.amdhsa_exception_fp_ieee_div_zero 0
		.amdhsa_exception_fp_ieee_overflow 0
		.amdhsa_exception_fp_ieee_underflow 0
		.amdhsa_exception_fp_ieee_inexact 0
		.amdhsa_exception_int_div_zero 0
	.end_amdhsa_kernel
	.text
.Lfunc_end0:
	.size	fft_rtc_fwd_len1287_factors_3_13_3_11_wgs_117_tpt_117_sp_op_CI_CI_sbrr_dirReg, .Lfunc_end0-fft_rtc_fwd_len1287_factors_3_13_3_11_wgs_117_tpt_117_sp_op_CI_CI_sbrr_dirReg
                                        ; -- End function
	.section	.AMDGPU.csdata,"",@progbits
; Kernel info:
; codeLenInByte = 11336
; NumSgprs: 45
; NumVgprs: 137
; ScratchSize: 0
; MemoryBound: 0
; FloatMode: 240
; IeeeMode: 1
; LDSByteSize: 0 bytes/workgroup (compile time only)
; SGPRBlocks: 5
; VGPRBlocks: 17
; NumSGPRsForWavesPerEU: 45
; NumVGPRsForWavesPerEU: 137
; Occupancy: 10
; WaveLimiterHint : 1
; COMPUTE_PGM_RSRC2:SCRATCH_EN: 0
; COMPUTE_PGM_RSRC2:USER_SGPR: 2
; COMPUTE_PGM_RSRC2:TRAP_HANDLER: 0
; COMPUTE_PGM_RSRC2:TGID_X_EN: 1
; COMPUTE_PGM_RSRC2:TGID_Y_EN: 0
; COMPUTE_PGM_RSRC2:TGID_Z_EN: 0
; COMPUTE_PGM_RSRC2:TIDIG_COMP_CNT: 0
	.text
	.p2alignl 7, 3214868480
	.fill 96, 4, 3214868480
	.type	__hip_cuid_70d2bd1cfccbc40c,@object ; @__hip_cuid_70d2bd1cfccbc40c
	.section	.bss,"aw",@nobits
	.globl	__hip_cuid_70d2bd1cfccbc40c
__hip_cuid_70d2bd1cfccbc40c:
	.byte	0                               ; 0x0
	.size	__hip_cuid_70d2bd1cfccbc40c, 1

	.ident	"AMD clang version 19.0.0git (https://github.com/RadeonOpenCompute/llvm-project roc-6.4.0 25133 c7fe45cf4b819c5991fe208aaa96edf142730f1d)"
	.section	".note.GNU-stack","",@progbits
	.addrsig
	.addrsig_sym __hip_cuid_70d2bd1cfccbc40c
	.amdgpu_metadata
---
amdhsa.kernels:
  - .args:
      - .actual_access:  read_only
        .address_space:  global
        .offset:         0
        .size:           8
        .value_kind:     global_buffer
      - .offset:         8
        .size:           8
        .value_kind:     by_value
      - .actual_access:  read_only
        .address_space:  global
        .offset:         16
        .size:           8
        .value_kind:     global_buffer
      - .actual_access:  read_only
        .address_space:  global
        .offset:         24
        .size:           8
        .value_kind:     global_buffer
      - .actual_access:  read_only
        .address_space:  global
        .offset:         32
        .size:           8
        .value_kind:     global_buffer
      - .offset:         40
        .size:           8
        .value_kind:     by_value
      - .actual_access:  read_only
        .address_space:  global
        .offset:         48
        .size:           8
        .value_kind:     global_buffer
      - .actual_access:  read_only
        .address_space:  global
        .offset:         56
        .size:           8
        .value_kind:     global_buffer
      - .offset:         64
        .size:           4
        .value_kind:     by_value
      - .actual_access:  read_only
        .address_space:  global
        .offset:         72
        .size:           8
        .value_kind:     global_buffer
      - .actual_access:  read_only
        .address_space:  global
        .offset:         80
        .size:           8
        .value_kind:     global_buffer
      - .actual_access:  read_only
        .address_space:  global
        .offset:         88
        .size:           8
        .value_kind:     global_buffer
      - .actual_access:  write_only
        .address_space:  global
        .offset:         96
        .size:           8
        .value_kind:     global_buffer
    .group_segment_fixed_size: 0
    .kernarg_segment_align: 8
    .kernarg_segment_size: 104
    .language:       OpenCL C
    .language_version:
      - 2
      - 0
    .max_flat_workgroup_size: 117
    .name:           fft_rtc_fwd_len1287_factors_3_13_3_11_wgs_117_tpt_117_sp_op_CI_CI_sbrr_dirReg
    .private_segment_fixed_size: 0
    .sgpr_count:     45
    .sgpr_spill_count: 0
    .symbol:         fft_rtc_fwd_len1287_factors_3_13_3_11_wgs_117_tpt_117_sp_op_CI_CI_sbrr_dirReg.kd
    .uniform_work_group_size: 1
    .uses_dynamic_stack: false
    .vgpr_count:     137
    .vgpr_spill_count: 0
    .wavefront_size: 32
    .workgroup_processor_mode: 1
amdhsa.target:   amdgcn-amd-amdhsa--gfx1201
amdhsa.version:
  - 1
  - 2
...

	.end_amdgpu_metadata
